;; amdgpu-corpus repo=ROCm/aiter kind=harvested arch=n/a opt=n/a

/root/src/amdgpu-assembly/repos/ROCm__aiter/hsa/gfx950/fmoe_2stages/fmoe_stage1_bf16_pertokenFp8_blockscale_g1u1_16x512_2tg_pf2.co:	file format elf64-amdgpu

Disassembly of section .text:

0000000000002a00 <_ZN5aiter59fmoe_stage1_bf16_pertokenFp8_blockscale_g1u1_16x512_2tg_pf2E>:
	s_and_b32 s1, s1, 0xffff                                   // 000000002A00: 8601FF01 0000FFFF
	s_load_dwordx2 s[8:9], s[0:1], 0x0                         // 000000002A08: C0060200 00000000
	s_load_dwordx2 s[20:21], s[0:1], 0x10                      // 000000002A10: C0060500 00000010
	s_load_dwordx2 s[24:25], s[0:1], 0x20                      // 000000002A18: C0060600 00000020
	s_load_dwordx2 s[48:49], s[0:1], 0x30                      // 000000002A20: C0060C00 00000030
	s_load_dwordx2 s[28:29], s[0:1], 0x40                      // 000000002A28: C0060700 00000040
	s_load_dwordx2 s[32:33], s[0:1], 0x50                      // 000000002A30: C0060800 00000050
	s_load_dwordx2 s[36:37], s[0:1], 0x60                      // 000000002A38: C0060900 00000060
	s_load_dwordx2 s[12:13], s[0:1], 0x70                      // 000000002A40: C0060300 00000070
	s_load_dwordx2 s[44:45], s[0:1], 0x80                      // 000000002A48: C0060B00 00000080
	s_mov_b32 s89, 0                                           // 000000002A50: BED90080
	s_load_dword s64, s[0:1], 0x90                             // 000000002A54: C0021000 00000090
	s_load_dword s65, s[0:1], 0xa0                             // 000000002A5C: C0021040 000000A0
	s_load_dword s66, s[0:1], 0xb0                             // 000000002A64: C0021080 000000B0
	s_load_dword s67, s[0:1], 0xc0                             // 000000002A6C: C00210C0 000000C0
	s_load_dword s68, s[0:1], 0xd0                             // 000000002A74: C0021100 000000D0
	s_load_dword s69, s[0:1], 0xe0                             // 000000002A7C: C0021140 000000E0
	s_load_dword s71, s[0:1], 0xf0                             // 000000002A84: C00211C0 000000F0
	s_load_dword s72, s[0:1], 0x100                            // 000000002A8C: C0021200 00000100
	s_load_dword s74, s[0:1], 0x110                            // 000000002A94: C0021280 00000110
	s_load_dword s76, s[0:1], 0x120                            // 000000002A9C: C0021300 00000120
	s_load_dword s56, s[0:1], 0x130                            // 000000002AA4: C0020E00 00000130
	s_load_dword s88, s[0:1], 0x140                            // 000000002AAC: C0021600 00000140
	s_load_dword s89, s[0:1], 0x150                            // 000000002AB4: C0021640 00000150
	v_lshrrev_b32_e32 v1, 10, v0                               // 000000002ABC: 2002008A
	v_lshrrev_b32_e32 v2, 10, v1                               // 000000002AC0: 2004028A
	v_and_b32_e32 v2, 0x3ff, v2                                // 000000002AC4: 260404FF 000003FF
	v_and_b32_e32 v1, 0x3ff, v1                                // 000000002ACC: 260202FF 000003FF
	v_and_b32_e32 v0, 0x3ff, v0                                // 000000002AD4: 260000FF 000003FF
	v_lshrrev_b32_e32 v3, 6, v0                                // 000000002ADC: 20060086
	v_and_b32_e32 v0, 63, v0                                   // 000000002AE0: 260000BF
	s_mov_b32 s2, s2                                           // 000000002AE4: BE820002
	s_mov_b32 s3, s3                                           // 000000002AE8: BE830003
	s_mov_b32 s4, s4                                           // 000000002AEC: BE840004
	v_readfirstlane_b32 s7, v3                                 // 000000002AF0: 7E0E0503
	s_waitcnt lgkmcnt(0)                                       // 000000002AF4: BF8CC07F
	s_and_b32 s49, s49, 0xffff                                 // 000000002AF8: 8631FF31 0000FFFF
	s_load_dword s48, s[48:49], 0x0                            // 000000002B00: C0020C18 00000000
	s_and_b32 s45, s45, 0xffff                                 // 000000002B08: 862DFF2D 0000FFFF
	s_and_b32 s9, s9, 0xffff                                   // 000000002B10: 8609FF09 0000FFFF
	s_mul_i32 s60, s66, s68                                    // 000000002B18: 923C4442
	s_mul_i32 s61, s66, 4                                      // 000000002B1C: 923D8442
	s_mov_b32 s22, s60                                         // 000000002B20: BE96003C
	s_mov_b32 s26, -16                                         // 000000002B24: BE9A00D0
	s_mov_b32 s30, s61                                         // 000000002B28: BE9E003D
	s_mov_b32 s14, 64                                          // 000000002B2C: BE8E00C0
	s_mov_b32 s38, -16                                         // 000000002B30: BEA600D0
	s_mov_b32 s10, -16                                         // 000000002B34: BE8A00D0
	s_lshr_b32 s60, s64, 7                                     // 000000002B38: 8F3C8740
	s_mul_i32 s61, s60, 4                                      // 000000002B3C: 923D843C
	s_lshr_b32 s60, s65, 7                                     // 000000002B40: 8F3C8741
	s_add_u32 s60, s60, 4                                      // 000000002B44: 803C843C
	s_mul_i32 s60, s60, s61                                    // 000000002B48: 923C3D3C
	s_mov_b32 s34, s60                                         // 000000002B4C: BEA2003C
	s_mov_b32 s23, 0x20000                                     // 000000002B50: BE9700FF 00020000
	s_mov_b32 s27, 0x20000                                     // 000000002B58: BE9B00FF 00020000
	s_mov_b32 s31, 0x20000                                     // 000000002B60: BE9F00FF 00020000
	s_mov_b32 s35, 0x20000                                     // 000000002B68: BEA300FF 00020000
	s_mov_b32 s15, 0x20000                                     // 000000002B70: BE8F00FF 00020000
	s_mov_b32 s39, 0x20000                                     // 000000002B78: BEA700FF 00020000
	s_mov_b32 s11, 0x20000                                     // 000000002B80: BE8B00FF 00020000
	s_and_b32 s21, s21, 0xffff                                 // 000000002B88: 8615FF15 0000FFFF
	s_and_b32 s25, s25, 0xffff                                 // 000000002B90: 8619FF19 0000FFFF
	s_and_b32 s29, s29, 0xffff                                 // 000000002B98: 861DFF1D 0000FFFF
	s_and_b32 s33, s33, 0xffff                                 // 000000002BA0: 8621FF21 0000FFFF
	s_and_b32 s13, s13, 0xffff                                 // 000000002BA8: 860DFF0D 0000FFFF
	s_and_b32 s37, s37, 0xffff                                 // 000000002BB0: 8625FF25 0000FFFF
	s_or_b32 s21, s21, 0x40000                                 // 000000002BB8: 8715FF15 00040000
	s_or_b32 s25, s25, 0x40000                                 // 000000002BC0: 8719FF19 00040000
	s_or_b32 s29, s29, 0x40000                                 // 000000002BC8: 871DFF1D 00040000
	s_or_b32 s33, s33, 0x40000                                 // 000000002BD0: 8721FF21 00040000
	s_or_b32 s13, s13, 0x40000                                 // 000000002BD8: 870DFF0D 00040000
	s_or_b32 s37, s37, 0x40000                                 // 000000002BE0: 8725FF25 00040000
	v_accvgpr_write_b32 a143, 0                                // 000000002BE8: D3D9408F 18000080
	v_mov_b32_e32 v107, 0                                      // 000000002BF0: 7ED60280
	s_waitcnt lgkmcnt(0)                                       // 000000002BF4: BF8CC07F
	s_mul_i32 s60, s3, 16                                      // 000000002BF8: 923C9003
	s_cmp_lt_i32 s60, s48                                      // 000000002BFC: BF04303C
	s_cbranch_scc0 label_1531                                  // 000000002C00: BF8414AD
	s_mov_b32 s80, 0                                           // 000000002C04: BED00080
	s_lshr_b32 s81, s64, s88                                   // 000000002C08: 8F515840
	s_mul_i32 s60, s3, 4                                       // 000000002C0C: 923C8403
	s_add_u32 s44, s60, s44                                    // 000000002C10: 802C2C3C
	s_addc_u32 s45, 0, s45                                     // 000000002C14: 822D2D80
	s_load_dword s5, s[44:45], 0x0                             // 000000002C18: C0020156 00000000
	s_mul_i32 s60, s3, 16                                      // 000000002C20: 923C9003
	s_mul_i32 s60, 4, s60                                      // 000000002C24: 923C3C84
	s_add_u32 s12, s60, s12                                    // 000000002C28: 800C0C3C
	s_addc_u32 s13, 0, s13                                     // 000000002C2C: 820D0D80
	v_and_b32_e32 v4, 15, v0                                   // 000000002C30: 2608008F
	v_lshlrev_b32_e32 v4, 2, v4                                // 000000002C34: 24080882
	buffer_load_dword v28, v4, s[12:15], 0 offen               // 000000002C38: E0501000 80031C04
	v_add_u32_e32 v4, 64, v4                                   // 000000002C40: 680808C0
	s_mul_i32 s60, 4, s7                                       // 000000002C44: 923C0784
	v_lshlrev_b32_e32 v4, 4, v0                                // 000000002C48: 24080084
	v_add_u32_e32 v4, s60, v4                                  // 000000002C4C: 6808083C
	buffer_load_dword v3, v4, s[12:15], 0 offen                // 000000002C50: E0501000 80030304
	v_mov_b32_e32 v44, 0                                       // 000000002C58: 7E580280
	v_mov_b32_e32 v76, 0                                       // 000000002C5C: 7E980280
	v_mov_b32_e32 v45, 0                                       // 000000002C60: 7E5A0280
	v_mov_b32_e32 v77, 0                                       // 000000002C64: 7E9A0280
	v_mov_b32_e32 v46, 0                                       // 000000002C68: 7E5C0280
	v_mov_b32_e32 v78, 0                                       // 000000002C6C: 7E9C0280
	v_mov_b32_e32 v47, 0                                       // 000000002C70: 7E5E0280
	v_mov_b32_e32 v79, 0                                       // 000000002C74: 7E9E0280
	v_mov_b32_e32 v48, 0                                       // 000000002C78: 7E600280
	v_mov_b32_e32 v80, 0                                       // 000000002C7C: 7EA00280
	v_mov_b32_e32 v49, 0                                       // 000000002C80: 7E620280
	v_mov_b32_e32 v81, 0                                       // 000000002C84: 7EA20280
	v_mov_b32_e32 v50, 0                                       // 000000002C88: 7E640280
	v_mov_b32_e32 v82, 0                                       // 000000002C8C: 7EA40280
	v_mov_b32_e32 v51, 0                                       // 000000002C90: 7E660280
	v_mov_b32_e32 v83, 0                                       // 000000002C94: 7EA60280
	v_mov_b32_e32 v52, 0                                       // 000000002C98: 7E680280
	v_mov_b32_e32 v84, 0                                       // 000000002C9C: 7EA80280
	v_mov_b32_e32 v53, 0                                       // 000000002CA0: 7E6A0280
	v_mov_b32_e32 v85, 0                                       // 000000002CA4: 7EAA0280
	v_mov_b32_e32 v54, 0                                       // 000000002CA8: 7E6C0280
	v_mov_b32_e32 v86, 0                                       // 000000002CAC: 7EAC0280
	v_mov_b32_e32 v55, 0                                       // 000000002CB0: 7E6E0280
	v_mov_b32_e32 v87, 0                                       // 000000002CB4: 7EAE0280
	v_mov_b32_e32 v56, 0                                       // 000000002CB8: 7E700280
	v_mov_b32_e32 v88, 0                                       // 000000002CBC: 7EB00280
	v_mov_b32_e32 v57, 0                                       // 000000002CC0: 7E720280
	v_mov_b32_e32 v89, 0                                       // 000000002CC4: 7EB20280
	v_mov_b32_e32 v58, 0                                       // 000000002CC8: 7E740280
	v_mov_b32_e32 v90, 0                                       // 000000002CCC: 7EB40280
	v_mov_b32_e32 v59, 0                                       // 000000002CD0: 7E760280
	v_mov_b32_e32 v91, 0                                       // 000000002CD4: 7EB60280
	v_mov_b32_e32 v60, 0                                       // 000000002CD8: 7E780280
	v_mov_b32_e32 v92, 0                                       // 000000002CDC: 7EB80280
	v_mov_b32_e32 v61, 0                                       // 000000002CE0: 7E7A0280
	v_mov_b32_e32 v93, 0                                       // 000000002CE4: 7EBA0280
	v_mov_b32_e32 v62, 0                                       // 000000002CE8: 7E7C0280
	v_mov_b32_e32 v94, 0                                       // 000000002CEC: 7EBC0280
	v_mov_b32_e32 v63, 0                                       // 000000002CF0: 7E7E0280
	v_mov_b32_e32 v95, 0                                       // 000000002CF4: 7EBE0280
	v_mov_b32_e32 v64, 0                                       // 000000002CF8: 7E800280
	v_mov_b32_e32 v96, 0                                       // 000000002CFC: 7EC00280
	v_mov_b32_e32 v65, 0                                       // 000000002D00: 7E820280
	v_mov_b32_e32 v97, 0                                       // 000000002D04: 7EC20280
	v_mov_b32_e32 v66, 0                                       // 000000002D08: 7E840280
	v_mov_b32_e32 v98, 0                                       // 000000002D0C: 7EC40280
	v_mov_b32_e32 v67, 0                                       // 000000002D10: 7E860280
	v_mov_b32_e32 v99, 0                                       // 000000002D14: 7EC60280
	v_mov_b32_e32 v68, 0                                       // 000000002D18: 7E880280
	v_mov_b32_e32 v100, 0                                      // 000000002D1C: 7EC80280
	v_mov_b32_e32 v69, 0                                       // 000000002D20: 7E8A0280
	v_mov_b32_e32 v101, 0                                      // 000000002D24: 7ECA0280
	v_mov_b32_e32 v70, 0                                       // 000000002D28: 7E8C0280
	v_mov_b32_e32 v102, 0                                      // 000000002D2C: 7ECC0280
	v_mov_b32_e32 v71, 0                                       // 000000002D30: 7E8E0280
	v_mov_b32_e32 v103, 0                                      // 000000002D34: 7ECE0280
	v_mov_b32_e32 v72, 0                                       // 000000002D38: 7E900280
	v_mov_b32_e32 v104, 0                                      // 000000002D3C: 7ED00280
	v_mov_b32_e32 v73, 0                                       // 000000002D40: 7E920280
	v_mov_b32_e32 v105, 0                                      // 000000002D44: 7ED20280
	v_mov_b32_e32 v74, 0                                       // 000000002D48: 7E940280
	v_mov_b32_e32 v106, 0                                      // 000000002D4C: 7ED40280
	v_mov_b32_e32 v75, 0                                       // 000000002D50: 7E960280
	v_mov_b32_e32 v107, 0                                      // 000000002D54: 7ED60280
	s_mul_i32 s60, s2, 0x200                                   // 000000002D58: 923CFF02 00000200
	s_cmp_eq_u32 s88, 0                                        // 000000002D60: BF068058
	s_cselect_b32 s61, 1, 4                                    // 000000002D64: 853D8481
	s_mul_i32 s60, s60, s61                                    // 000000002D68: 923C3D3C
	s_mov_b32 s90, s8                                          // 000000002D6C: BEDA0008
	s_mov_b32 s91, s9                                          // 000000002D70: BEDB0009
	s_add_u32 s8, s60, s8                                      // 000000002D74: 8008083C
	s_addc_u32 s9, 0, s9                                       // 000000002D78: 82090980
	v_lshrrev_b32_e32 v4, 4, v0                                // 000000002D7C: 20080084
	v_mul_lo_u32 v20, 34, v4                                   // 000000002D80: D2850014 000208A2
	v_and_b32_e32 v4, 15, v0                                   // 000000002D88: 2608008F
	v_mul_lo_u32 v5, 2, v4                                     // 000000002D8C: D2850005 00020882
	v_add_u32_e32 v20, v5, v20                                 // 000000002D94: 68282905
	s_mul_i32 s60, s7, 0x88                                    // 000000002D98: 923CFF07 00000088
	v_add_u32_e32 v20, s60, v20                                // 000000002DA0: 6828283C
	v_lshlrev_b32_e32 v20, 2, v20                              // 000000002DA4: 24282882
	v_and_b32_e32 v4, 31, v0                                   // 000000002DA8: 2608009F
	v_lshrrev_b32_e32 v4, 1, v4                                // 000000002DAC: 20080881
	v_mul_lo_u32 v21, 34, v4                                   // 000000002DB0: D2850015 000208A2
	v_lshrrev_b32_e32 v4, 5, v0                                // 000000002DB8: 20080085
	v_mul_lo_u32 v4, 8, v4                                     // 000000002DBC: D2850004 00020888
	v_add_u32_e32 v21, v21, v4                                 // 000000002DC4: 682A0915
	v_and_b32_e32 v5, 1, v0                                    // 000000002DC8: 260A0081
	v_add_u32_e32 v21, v5, v21                                 // 000000002DCC: 682A2B05
	s_mul_i32 s60, s7, 2                                       // 000000002DD0: 923C8207
	v_add_u32_e32 v21, s60, v21                                // 000000002DD4: 682A2A3C
	v_lshlrev_b32_e32 v21, 2, v21                              // 000000002DD8: 242A2A82
	s_mul_i32 s60, s7, 0x220                                   // 000000002DDC: 923CFF07 00000220
	s_add_u32 s48, 0, s60                                      // 000000002DE4: 80303C80
	s_add_u32 s49, 0x880, s48                                  // 000000002DE8: 803130FF 00000880
	v_lshrrev_b32_e32 v4, 4, v0                                // 000000002DF0: 20080084
	v_lshlrev_b32_e32 v5, 2, v4                                // 000000002DF4: 240A0882
	v_and_b32_e32 v4, 15, v0                                   // 000000002DF8: 2608008F
	v_lshrrev_b32_e32 v6, 2, v4                                // 000000002DFC: 200C0882
	v_lshlrev_b32_e32 v6, 5, v6                                // 000000002E00: 240C0C85
	v_add_u32_e32 v5, v6, v5                                   // 000000002E04: 680A0B06
	v_and_b32_e32 v4, 3, v0                                    // 000000002E08: 26080083
	v_mul_u32_u24_e32 v6, 0x88, v4                             // 000000002E0C: 100C08FF 00000088
	v_add_u32_e32 v5, v6, v5                                   // 000000002E14: 680A0B06
	v_lshlrev_b32_e32 v2, 2, v5                                // 000000002E18: 24040A82
	s_waitcnt lgkmcnt(0)                                       // 000000002E1C: BF8CC07F
	s_mul_i32 s60, s2, 0x200                                   // 000000002E20: 923CFF02 00000200
	s_mul_i32 s60, s60, s69                                    // 000000002E28: 923C453C
	s_mul_i32 s61, s5, s72                                     // 000000002E2C: 923D4805
	s_add_u32 s60, s61, s60                                    // 000000002E30: 803C3C3D
	s_add_u32 s24, s60, s24                                    // 000000002E34: 8018183C
	s_addc_u32 s25, 0, s25                                     // 000000002E38: 82191980
	s_lshr_b32 s60, s64, s88                                   // 000000002E3C: 8F3C5840
	s_mul_i32 s60, s4, s60                                     // 000000002E40: 923C3C04
	s_lshr_b32 s60, s60, 7                                     // 000000002E44: 8F3C873C
	s_mul_i32 s60, s60, 0x800                                  // 000000002E48: 923CFF3C 00000800
	s_add_u32 s24, s60, s24                                    // 000000002E50: 8018183C
	s_addc_u32 s25, 0, s25                                     // 000000002E54: 82191980
	s_lshr_b32 s60, s69, s88                                   // 000000002E58: 8F3C5845
	s_mul_i32 s60, s4, s60                                     // 000000002E5C: 923C3C04
	s_add_u32 s20, s60, s20                                    // 000000002E60: 8014143C
	s_addc_u32 s21, 0, s21                                     // 000000002E64: 82151580
	s_mul_i32 s60, s7, 16                                      // 000000002E68: 923C9007
	s_mul_i32 s60, s60, s69                                    // 000000002E6C: 923C453C
	v_lshlrev_b32_e32 v34, 4, v0                               // 000000002E70: 24440084
	v_add_u32_e32 v34, s60, v34                                // 000000002E74: 6844443C
	s_mul_i32 s60, 64, s69                                     // 000000002E78: 923C45C0
	v_add_u32_e32 v35, s60, v34                                // 000000002E7C: 6846443C
	v_add_u32_e32 v36, s60, v35                                // 000000002E80: 6848463C
	v_add_u32_e32 v37, s60, v36                                // 000000002E84: 684A483C
	v_add_u32_e32 v38, s60, v37                                // 000000002E88: 684C4A3C
	v_add_u32_e32 v39, s60, v38                                // 000000002E8C: 684E4C3C
	v_add_u32_e32 v40, s60, v39                                // 000000002E90: 68504E3C
	v_add_u32_e32 v41, s60, v40                                // 000000002E94: 6852503C
	s_mov_b32 s84, s24                                         // 000000002E98: BED40018
	s_mov_b32 s85, s25                                         // 000000002E9C: BED50019
	s_mov_b32 s86, s26                                         // 000000002EA0: BED6001A
	s_mov_b32 s87, s27                                         // 000000002EA4: BED7001B
	s_mul_i32 s60, s69, s65                                    // 000000002EA8: 923C4145
	s_add_u32 s84, s60, s84                                    // 000000002EAC: 8054543C
	s_addc_u32 s85, 0, s85                                     // 000000002EB0: 82555580
	s_lshr_b32 s60, s64, 7                                     // 000000002EB4: 8F3C8740
	s_mul_i32 s61, s60, 4                                      // 000000002EB8: 923D843C
	v_and_b32_e32 v22, 15, v0                                  // 000000002EBC: 262C008F
	v_mul_lo_u32 v22, v22, s61                                 // 000000002EC0: D2850016 00007B16
	s_lshr_b32 s60, s65, 7                                     // 000000002EC8: 8F3C8741
	s_mul_i32 s60, s60, s61                                    // 000000002ECC: 923C3D3C
	v_add_u32_e64 v23, v22, s60                                // 000000002ED0: D1340017 00007916
	s_mul_i32 s60, s2, 4                                       // 000000002ED8: 923C8402
	s_mul_i32 s60, s60, s61                                    // 000000002EDC: 923C3D3C
	s_mul_i32 s61, s5, s74                                     // 000000002EE0: 923D4A05
	s_add_u32 s61, s61, s60                                    // 000000002EE4: 803D3C3D
	s_add_u32 s32, s61, s32                                    // 000000002EE8: 8020203D
	s_addc_u32 s33, 0, s33                                     // 000000002EEC: 82212180
	s_lshr_b32 s60, s64, 7                                     // 000000002EF0: 8F3C8740
	s_lshr_b32 s60, s60, s88                                   // 000000002EF4: 8F3C583C
	s_mul_i32 s60, s4, s60                                     // 000000002EF8: 923C3C04
	s_mul_i32 s61, s60, 4                                      // 000000002EFC: 923D843C
	s_add_u32 s32, s61, s32                                    // 000000002F00: 8020203D
	s_addc_u32 s33, 0, s33                                     // 000000002F04: 82212180
	s_lshl_b32 s62, s66, 2                                     // 000000002F08: 8E3E8242
	s_mul_i32 s62, s60, s62                                    // 000000002F0C: 923E3E3C
	s_add_u32 s28, s62, s28                                    // 000000002F10: 801C1C3E
	s_addc_u32 s29, 0, s29                                     // 000000002F14: 821D1D80
	s_mov_b32 s4, 4                                            // 000000002F18: BE840084
	s_mov_b32 s57, 0x80                                        // 000000002F1C: BEB900FF 00000080
	s_mov_b32 s58, 0x800                                       // 000000002F24: BEBA00FF 00000800
	s_mov_b32 s83, s58                                         // 000000002F2C: BED3003A
	s_mov_b32 s52, 0x7060302                                   // 000000002F30: BEB400FF 07060302
	s_mov_b32 s53, 0x400                                       // 000000002F38: BEB500FF 00000400
	s_mov_b32 s54, 0x40100                                     // 000000002F40: BEB600FF 00040100
	s_mov_b32 s55, 0x4020100                                   // 000000002F48: BEB700FF 04020100
	s_mov_b32 s6, 0x3fb8aa3b                                   // 000000002F50: BE8600FF 3FB8AA3B
	s_mov_b32 s78, 0xbd92220c                                  // 000000002F58: BECE00FF BD92220C
	s_mov_b32 s79, 0xbd92220c                                  // 000000002F60: BECF00FF BD92220C
	s_mov_b32 m0, s48                                          // 000000002F68: BEFC0030
	v_mov_b32_e32 v1, 0xbfcc4231                               // 000000002F6C: 7E0202FF BFCC4231
	v_mov_b32_e32 v17, 0xffff0000                              // 000000002F74: 7E2202FF FFFF0000
	v_mov_b32_e32 v18, 0x7fff0000                              // 000000002F7C: 7E2402FF 7FFF0000
	v_mov_b32_e32 v19, 0x7fff                                  // 000000002F84: 7E2602FF 00007FFF
	s_waitcnt vmcnt(0) expcnt(0) lgkmcnt(0)                    // 000000002F8C: BF8C0000
	v_lshrrev_b32_e32 v4, 5, v0                                // 000000002F90: 20080085
	v_xor_b32_e32 v5, 1, v4                                    // 000000002F94: 2A0A0881
	v_readlane_b32 s82, v3, 0                                  // 000000002F98: D2890052 00010103
	s_and_b32 s82, s82, 0xffffff                               // 000000002FA0: 8652FF52 00FFFFFF
	v_mul_lo_u32 v6, v5, s82                                   // 000000002FA8: D2850006 0000A505
	v_readlane_b32 s82, v3, 1                                  // 000000002FB0: D2890052 00010303
	s_and_b32 s82, s82, 0xffffff                               // 000000002FB8: 8652FF52 00FFFFFF
	v_mul_lo_u32 v7, v4, s82                                   // 000000002FC0: D2850007 0000A504
	v_add_u32_e32 v32, v6, v7                                  // 000000002FC8: 68400F06
	v_mul_lo_u32 v32, v32, s68                                 // 000000002FCC: D2850020 00008920
	v_readlane_b32 s82, v3, 2                                  // 000000002FD4: D2890052 00010503
	s_and_b32 s82, s82, 0xffffff                               // 000000002FDC: 8652FF52 00FFFFFF
	v_mul_lo_u32 v6, v5, s82                                   // 000000002FE4: D2850006 0000A505
	v_readlane_b32 s82, v3, 3                                  // 000000002FEC: D2890052 00010703
	s_and_b32 s82, s82, 0xffffff                               // 000000002FF4: 8652FF52 00FFFFFF
	v_mul_lo_u32 v7, v4, s82                                   // 000000002FFC: D2850007 0000A504
	v_add_u32_e32 v33, v6, v7                                  // 000000003004: 68420F06
	v_mul_lo_u32 v33, v33, s68                                 // 000000003008: D2850021 00008921
	v_and_b32_e32 v4, 31, v0                                   // 000000003010: 2608009F
	v_lshlrev_b32_e32 v4, 2, v4                                // 000000003014: 24080882
	v_add_u32_e32 v32, v32, v4                                 // 000000003018: 68400920
	v_add_u32_e32 v33, v33, v4                                 // 00000000301C: 68420921
	v_and_b32_e32 v28, 0xffffff, v28                           // 000000003020: 263838FF 00FFFFFF
	v_lshlrev_b32_e32 v28, 2, v28                              // 000000003028: 24383882
	s_lshl_b32 s3, s66, 2                                      // 00000000302C: 8E038242
	buffer_load_dword v32, s[20:23], 0 offen lds               // 000000003030: E0511000 80050020
	s_add_u32 m0, 0x100, s48                                   // 000000003038: 807C30FF 00000100
	buffer_load_dword v33, s[20:23], 0 offen lds               // 000000003040: E0511000 80050021
	s_add_u32 m0, 0, s49                                       // 000000003048: 807C3180
	s_add_u32 s20, s57, s20                                    // 00000000304C: 80141439
	s_addc_u32 s21, 0, s21                                     // 000000003050: 82151580
	buffer_load_dword v29, v28, s[28:31], 0 offen              // 000000003054: E0501000 80071D1C
	s_add_u32 s28, s3, s28                                     // 00000000305C: 801C1C03
	s_addc_u32 s29, 0, s29                                     // 000000003060: 821D1D80
	buffer_load_dword v32, s[20:23], 0 offen lds               // 000000003064: E0511000 80050020
	s_add_u32 m0, 0x100, s49                                   // 00000000306C: 807C31FF 00000100
	buffer_load_dword v33, s[20:23], 0 offen lds               // 000000003074: E0511000 80050021
	s_add_u32 m0, 0, s48                                       // 00000000307C: 807C3080
	s_add_u32 s20, s57, s20                                    // 000000003080: 80141439
	s_addc_u32 s21, 0, s21                                     // 000000003084: 82151580
	buffer_load_dword v30, v28, s[28:31], 0 offen              // 000000003088: E0501000 80071E1C
	s_add_u32 s28, s3, s28                                     // 000000003090: 801C1C03
	s_addc_u32 s29, 0, s29                                     // 000000003094: 821D1D80
	buffer_load_dword v24, v22, s[32:35], 0 offen              // 000000003098: E0501000 80081816
	buffer_load_dwordx4 a[16:19], v34, s[24:27], 0 offen       // 0000000030A0: E05C1000 80861022
	buffer_load_dwordx4 a[20:23], v34, s[24:27], 0 offen offset:1024// 0000000030A8: E05C1400 80861422
	buffer_load_dwordx4 a[24:27], v35, s[24:27], 0 offen       // 0000000030B0: E05C1000 80861823
	buffer_load_dwordx4 a[28:31], v35, s[24:27], 0 offen offset:1024// 0000000030B8: E05C1400 80861C23
	buffer_load_dwordx4 a[32:35], v36, s[24:27], 0 offen       // 0000000030C0: E05C1000 80862024
	buffer_load_dwordx4 a[36:39], v36, s[24:27], 0 offen offset:1024// 0000000030C8: E05C1400 80862424
	buffer_load_dwordx4 a[40:43], v37, s[24:27], 0 offen       // 0000000030D0: E05C1000 80862825
	buffer_load_dwordx4 a[44:47], v37, s[24:27], 0 offen offset:1024// 0000000030D8: E05C1400 80862C25
	buffer_load_dwordx4 a[48:51], v38, s[24:27], 0 offen       // 0000000030E0: E05C1000 80863026
	buffer_load_dwordx4 a[52:55], v38, s[24:27], 0 offen offset:1024// 0000000030E8: E05C1400 80863426
	buffer_load_dwordx4 a[56:59], v39, s[24:27], 0 offen       // 0000000030F0: E05C1000 80863827
	buffer_load_dwordx4 a[60:63], v39, s[24:27], 0 offen offset:1024// 0000000030F8: E05C1400 80863C27
	buffer_load_dwordx4 a[64:67], v40, s[24:27], 0 offen       // 000000003100: E05C1000 80864028
	buffer_load_dwordx4 a[68:71], v40, s[24:27], 0 offen offset:1024// 000000003108: E05C1400 80864428
	buffer_load_dwordx4 a[72:75], v41, s[24:27], 0 offen       // 000000003110: E05C1000 80864829
	buffer_load_dwordx4 a[76:79], v41, s[24:27], 0 offen offset:1024// 000000003118: E05C1400 80864C29
	s_add_u32 s24, s58, s24                                    // 000000003120: 8018183A
	s_addc_u32 s25, 0, s25                                     // 000000003124: 82191980
	s_waitcnt vmcnt(21)                                        // 000000003128: BF8C4F75
	s_barrier                                                  // 00000000312C: BF8A0000
	ds_read_b128 a[0:3], v2                                    // 000000003130: DBFE0000 00000002
	ds_read_b128 a[4:7], v2 offset:64                          // 000000003138: DBFE0040 04000002
	s_cmp_lt_i32 s7, 2                                         // 000000003140: BF048207
	s_cbranch_scc0 label_0B83                                  // 000000003144: BF8409AE

0000000000003148 <label_01D2>:
	s_waitcnt vmcnt(14) lgkmcnt(0)                             // 000000003148: BF8C007E
	s_barrier                                                  // 00000000314C: BF8A0000
	v_mov_b32_e32 v31, v29                                     // 000000003150: 7E3E031D
	v_mul_f32_dpp v4, v24, v31 row_newbcast:0 row_mask:0xf bank_mask:0xf// 000000003154: 0A083EFA FF015018
	v_mfma_f32_16x16x32_fp8_fp8 v[8:11], a[16:17], a[0:1], 0   // 00000000315C: D3F30008 1A020110
	buffer_load_dword v27, v23, s[32:35], 0 offen              // 000000003164: E0501000 80081B17
	v_mfma_f32_16x16x32_fp8_fp8 v[8:11], a[18:19], a[2:3], v[8:11]// 00000000316C: D3F30008 1C220512
	buffer_load_dwordx4 a[80:83], v34, s[84:87], 0 offen       // 000000003174: E05C1000 80955022
	v_mfma_f32_16x16x32_fp8_fp8 v[8:11], a[20:21], a[4:5], v[8:11]// 00000000317C: D3F30008 1C220914
	v_mfma_f32_16x16x32_fp8_fp8 v[8:11], a[22:23], a[6:7], v[8:11]// 000000003184: D3F30008 1C220D16
	s_waitcnt vmcnt(14)                                        // 00000000318C: BF8C0F7E
	v_mul_f32_dpp v6, v24, v31 row_newbcast:0 row_mask:0xf bank_mask:0xf// 000000003190: 0A0C3EFA FF015018
	v_mfma_f32_16x16x32_fp8_fp8 v[12:15], a[24:25], a[0:1], 0  // 000000003198: D3F3000C 1A020118
	v_mfma_f32_16x16x32_fp8_fp8 v[12:15], a[26:27], a[2:3], v[12:15]// 0000000031A0: D3F3000C 1C32051A
	buffer_load_dwordx4 a[84:87], v34, s[84:87], 0 offen offset:1024// 0000000031A8: E05C1400 80955422
	v_mfma_f32_16x16x32_fp8_fp8 v[12:15], a[28:29], a[4:5], v[12:15]// 0000000031B0: D3F3000C 1C32091C
	v_mfma_f32_16x16x32_fp8_fp8 v[12:15], a[30:31], a[6:7], v[12:15]// 0000000031B8: D3F3000C 1C320D1E
	v_fma_f32 v44, v8, v4, v44                                 // 0000000031C0: D1CB002C 04B20908
	v_fma_f32 v45, v9, v4, v45                                 // 0000000031C8: D1CB002D 04B60909
	v_fma_f32 v46, v10, v4, v46                                // 0000000031D0: D1CB002E 04BA090A
	v_fma_f32 v47, v11, v4, v47                                // 0000000031D8: D1CB002F 04BE090B
	s_waitcnt vmcnt(13)                                        // 0000000031E0: BF8C0F7D
	v_mul_f32_dpp v4, v24, v31 row_newbcast:1 row_mask:0xf bank_mask:0xf// 0000000031E4: 0A083EFA FF015118
	v_mfma_f32_16x16x32_fp8_fp8 v[8:11], a[32:33], a[0:1], 0   // 0000000031EC: D3F30008 1A020120
	v_mfma_f32_16x16x32_fp8_fp8 v[8:11], a[34:35], a[2:3], v[8:11]// 0000000031F4: D3F30008 1C220522
	buffer_load_dwordx4 a[88:91], v35, s[84:87], 0 offen       // 0000000031FC: E05C1000 80955823
	v_mfma_f32_16x16x32_fp8_fp8 v[8:11], a[36:37], a[4:5], v[8:11]// 000000003204: D3F30008 1C220924
	v_mfma_f32_16x16x32_fp8_fp8 v[8:11], a[38:39], a[6:7], v[8:11]// 00000000320C: D3F30008 1C220D26
	v_fma_f32 v48, v12, v6, v48                                // 000000003214: D1CB0030 04C20D0C
	v_fma_f32 v49, v13, v6, v49                                // 00000000321C: D1CB0031 04C60D0D
	v_fma_f32 v50, v14, v6, v50                                // 000000003224: D1CB0032 04CA0D0E
	v_fma_f32 v51, v15, v6, v51                                // 00000000322C: D1CB0033 04CE0D0F
	s_waitcnt vmcnt(12)                                        // 000000003234: BF8C0F7C
	v_mul_f32_dpp v6, v24, v31 row_newbcast:1 row_mask:0xf bank_mask:0xf// 000000003238: 0A0C3EFA FF015118
	v_mfma_f32_16x16x32_fp8_fp8 v[12:15], a[40:41], a[0:1], 0  // 000000003240: D3F3000C 1A020128
	v_mfma_f32_16x16x32_fp8_fp8 v[12:15], a[42:43], a[2:3], v[12:15]// 000000003248: D3F3000C 1C32052A
	buffer_load_dwordx4 a[92:95], v35, s[84:87], 0 offen offset:1024// 000000003250: E05C1400 80955C23
	v_mfma_f32_16x16x32_fp8_fp8 v[12:15], a[44:45], a[4:5], v[12:15]// 000000003258: D3F3000C 1C32092C
	v_mfma_f32_16x16x32_fp8_fp8 v[12:15], a[46:47], a[6:7], v[12:15]// 000000003260: D3F3000C 1C320D2E
	v_fma_f32 v52, v8, v4, v52                                 // 000000003268: D1CB0034 04D20908
	v_fma_f32 v53, v9, v4, v53                                 // 000000003270: D1CB0035 04D60909
	v_fma_f32 v54, v10, v4, v54                                // 000000003278: D1CB0036 04DA090A
	v_fma_f32 v55, v11, v4, v55                                // 000000003280: D1CB0037 04DE090B
	s_waitcnt vmcnt(11)                                        // 000000003288: BF8C0F7B
	v_mul_f32_dpp v4, v24, v31 row_newbcast:2 row_mask:0xf bank_mask:0xf// 00000000328C: 0A083EFA FF015218
	v_mfma_f32_16x16x32_fp8_fp8 v[8:11], a[48:49], a[0:1], 0   // 000000003294: D3F30008 1A020130
	v_mfma_f32_16x16x32_fp8_fp8 v[8:11], a[50:51], a[2:3], v[8:11]// 00000000329C: D3F30008 1C220532
	buffer_load_dwordx4 a[96:99], v36, s[84:87], 0 offen       // 0000000032A4: E05C1000 80956024
	v_mfma_f32_16x16x32_fp8_fp8 v[8:11], a[52:53], a[4:5], v[8:11]// 0000000032AC: D3F30008 1C220934
	v_mfma_f32_16x16x32_fp8_fp8 v[8:11], a[54:55], a[6:7], v[8:11]// 0000000032B4: D3F30008 1C220D36
	v_fma_f32 v56, v12, v6, v56                                // 0000000032BC: D1CB0038 04E20D0C
	v_fma_f32 v57, v13, v6, v57                                // 0000000032C4: D1CB0039 04E60D0D
	v_fma_f32 v58, v14, v6, v58                                // 0000000032CC: D1CB003A 04EA0D0E
	v_fma_f32 v59, v15, v6, v59                                // 0000000032D4: D1CB003B 04EE0D0F
	s_waitcnt vmcnt(10)                                        // 0000000032DC: BF8C0F7A
	v_mul_f32_dpp v6, v24, v31 row_newbcast:2 row_mask:0xf bank_mask:0xf// 0000000032E0: 0A0C3EFA FF015218
	v_mfma_f32_16x16x32_fp8_fp8 v[12:15], a[56:57], a[0:1], 0  // 0000000032E8: D3F3000C 1A020138
	v_mfma_f32_16x16x32_fp8_fp8 v[12:15], a[58:59], a[2:3], v[12:15]// 0000000032F0: D3F3000C 1C32053A
	buffer_load_dwordx4 a[100:103], v36, s[84:87], 0 offen offset:1024// 0000000032F8: E05C1400 80956424
	v_mfma_f32_16x16x32_fp8_fp8 v[12:15], a[60:61], a[4:5], v[12:15]// 000000003300: D3F3000C 1C32093C
	v_mfma_f32_16x16x32_fp8_fp8 v[12:15], a[62:63], a[6:7], v[12:15]// 000000003308: D3F3000C 1C320D3E
	v_fma_f32 v60, v8, v4, v60                                 // 000000003310: D1CB003C 04F20908
	v_fma_f32 v61, v9, v4, v61                                 // 000000003318: D1CB003D 04F60909
	v_fma_f32 v62, v10, v4, v62                                // 000000003320: D1CB003E 04FA090A
	v_fma_f32 v63, v11, v4, v63                                // 000000003328: D1CB003F 04FE090B
	s_waitcnt vmcnt(9)                                         // 000000003330: BF8C0F79
	v_mul_f32_dpp v4, v24, v31 row_newbcast:3 row_mask:0xf bank_mask:0xf// 000000003334: 0A083EFA FF015318
	v_mfma_f32_16x16x32_fp8_fp8 v[8:11], a[64:65], a[0:1], 0   // 00000000333C: D3F30008 1A020140
	v_mfma_f32_16x16x32_fp8_fp8 v[8:11], a[66:67], a[2:3], v[8:11]// 000000003344: D3F30008 1C220542
	buffer_load_dwordx4 a[104:107], v37, s[84:87], 0 offen     // 00000000334C: E05C1000 80956825
	v_mfma_f32_16x16x32_fp8_fp8 v[8:11], a[68:69], a[4:5], v[8:11]// 000000003354: D3F30008 1C220944
	v_mfma_f32_16x16x32_fp8_fp8 v[8:11], a[70:71], a[6:7], v[8:11]// 00000000335C: D3F30008 1C220D46
	v_fma_f32 v64, v12, v6, v64                                // 000000003364: D1CB0040 05020D0C
	v_fma_f32 v65, v13, v6, v65                                // 00000000336C: D1CB0041 05060D0D
	v_fma_f32 v66, v14, v6, v66                                // 000000003374: D1CB0042 050A0D0E
	v_fma_f32 v67, v15, v6, v67                                // 00000000337C: D1CB0043 050E0D0F
	s_waitcnt vmcnt(8)                                         // 000000003384: BF8C0F78
	v_mul_f32_dpp v6, v24, v31 row_newbcast:3 row_mask:0xf bank_mask:0xf// 000000003388: 0A0C3EFA FF015318
	v_mfma_f32_16x16x32_fp8_fp8 v[12:15], a[72:73], a[0:1], 0  // 000000003390: D3F3000C 1A020148
	v_mfma_f32_16x16x32_fp8_fp8 v[12:15], a[74:75], a[2:3], v[12:15]// 000000003398: D3F3000C 1C32054A
	buffer_load_dwordx4 a[108:111], v37, s[84:87], 0 offen offset:1024// 0000000033A0: E05C1400 80956C25
	s_add_u32 s60, 0x80, s80                                   // 0000000033A8: 803C50FF 00000080
	s_cmp_lt_u32 s60, s81                                      // 0000000033B0: BF0A513C
	s_cselect_b32 s83, s83, 0                                  // 0000000033B4: 85538053
	s_cselect_b32 s4, s4, 0                                    // 0000000033B8: 85048004
	v_mfma_f32_16x16x32_fp8_fp8 v[12:15], a[76:77], a[4:5], v[12:15]// 0000000033BC: D3F3000C 1C32094C
	s_add_u32 s32, s4, s32                                     // 0000000033C4: 80202004
	s_addc_u32 s33, 0, s33                                     // 0000000033C8: 82212180
	v_mfma_f32_16x16x32_fp8_fp8 v[12:15], a[78:79], a[6:7], v[12:15]// 0000000033CC: D3F3000C 1C320D4E
	v_fma_f32 v68, v8, v4, v68                                 // 0000000033D4: D1CB0044 05120908
	v_fma_f32 v69, v9, v4, v69                                 // 0000000033DC: D1CB0045 05160909
	v_fma_f32 v70, v10, v4, v70                                // 0000000033E4: D1CB0046 051A090A
	v_fma_f32 v71, v11, v4, v71                                // 0000000033EC: D1CB0047 051E090B
	v_fma_f32 v72, v12, v6, v72                                // 0000000033F4: D1CB0048 05220D0C
	v_fma_f32 v73, v13, v6, v73                                // 0000000033FC: D1CB0049 05260D0D
	v_fma_f32 v74, v14, v6, v74                                // 000000003404: D1CB004A 052A0D0E
	v_fma_f32 v75, v15, v6, v75                                // 00000000340C: D1CB004B 052E0D0F
	buffer_load_dwordx4 a[112:115], v38, s[84:87], 0 offen     // 000000003414: E05C1000 80957026
	buffer_load_dwordx4 a[116:119], v38, s[84:87], 0 offen offset:1024// 00000000341C: E05C1400 80957426
	buffer_load_dwordx4 a[120:123], v39, s[84:87], 0 offen     // 000000003424: E05C1000 80957827
	buffer_load_dwordx4 a[124:127], v39, s[84:87], 0 offen offset:1024// 00000000342C: E05C1400 80957C27
	buffer_load_dwordx4 a[128:131], v40, s[84:87], 0 offen     // 000000003434: E05C1000 80958028
	buffer_load_dwordx4 a[132:135], v40, s[84:87], 0 offen offset:1024// 00000000343C: E05C1400 80958428
	buffer_load_dwordx4 a[136:139], v41, s[84:87], 0 offen     // 000000003444: E05C1000 80958829
	buffer_load_dwordx4 a[140:143], v41, s[84:87], 0 offen offset:1024// 00000000344C: E05C1400 80958C29
	buffer_load_dword v32, s[20:23], 0 offen lds               // 000000003454: E0511000 80050020
	s_add_u32 m0, 0x100, s48                                   // 00000000345C: 807C30FF 00000100
	buffer_load_dword v33, s[20:23], 0 offen lds               // 000000003464: E0511000 80050021
	s_add_u32 m0, 0, s49                                       // 00000000346C: 807C3180
	buffer_load_dword v29, v28, s[28:31], 0 offen              // 000000003470: E0501000 80071D1C
	s_waitcnt vmcnt(3)                                         // 000000003478: BF8C0F73
	v_mul_f32_dpp v4, v27, v31 row_newbcast:0 row_mask:0xf bank_mask:0xf// 00000000347C: 0A083EFA FF01501B
	v_mfma_f32_16x16x32_fp8_fp8 v[8:11], a[80:81], a[0:1], 0   // 000000003484: D3F30008 1A020150
	buffer_load_dword v24, v22, s[32:35], 0 offen              // 00000000348C: E0501000 80081816
	v_mfma_f32_16x16x32_fp8_fp8 v[8:11], a[82:83], a[2:3], v[8:11]// 000000003494: D3F30008 1C220552
	buffer_load_dwordx4 a[16:19], v34, s[24:27], 0 offen       // 00000000349C: E05C1000 80861022
	v_mfma_f32_16x16x32_fp8_fp8 v[8:11], a[84:85], a[4:5], v[8:11]// 0000000034A4: D3F30008 1C220954
	v_mfma_f32_16x16x32_fp8_fp8 v[8:11], a[86:87], a[6:7], v[8:11]// 0000000034AC: D3F30008 1C220D56
	ds_read_b128 a[8:11], v2 offset:2176                       // 0000000034B4: DBFE0880 08000002
	ds_read_b128 a[12:15], v2 offset:2240                      // 0000000034BC: DBFE08C0 0C000002
	v_mfma_f32_16x16x32_fp8_fp8 v[12:15], a[88:89], a[0:1], 0  // 0000000034C4: D3F3000C 1A020158
	v_mfma_f32_16x16x32_fp8_fp8 v[12:15], a[90:91], a[2:3], v[12:15]// 0000000034CC: D3F3000C 1C32055A
	buffer_load_dwordx4 a[20:23], v34, s[24:27], 0 offen offset:1024// 0000000034D4: E05C1400 80861422
	v_mfma_f32_16x16x32_fp8_fp8 v[12:15], a[92:93], a[4:5], v[12:15]// 0000000034DC: D3F3000C 1C32095C
	v_mfma_f32_16x16x32_fp8_fp8 v[12:15], a[94:95], a[6:7], v[12:15]// 0000000034E4: D3F3000C 1C320D5E
	v_fma_f32 v76, v8, v4, v76                                 // 0000000034EC: D1CB004C 05320908
	v_fma_f32 v77, v9, v4, v77                                 // 0000000034F4: D1CB004D 05360909
	v_fma_f32 v78, v10, v4, v78                                // 0000000034FC: D1CB004E 053A090A
	v_fma_f32 v79, v11, v4, v79                                // 000000003504: D1CB004F 053E090B
	v_mul_f32_dpp v6, v27, v31 row_newbcast:1 row_mask:0xf bank_mask:0xf// 00000000350C: 0A0C3EFA FF01511B
	v_mfma_f32_16x16x32_fp8_fp8 v[8:11], a[96:97], a[0:1], 0   // 000000003514: D3F30008 1A020160
	v_mfma_f32_16x16x32_fp8_fp8 v[8:11], a[98:99], a[2:3], v[8:11]// 00000000351C: D3F30008 1C220562
	buffer_load_dwordx4 a[24:27], v35, s[24:27], 0 offen       // 000000003524: E05C1000 80861823
	v_mfma_f32_16x16x32_fp8_fp8 v[8:11], a[100:101], a[4:5], v[8:11]// 00000000352C: D3F30008 1C220964
	v_mfma_f32_16x16x32_fp8_fp8 v[8:11], a[102:103], a[6:7], v[8:11]// 000000003534: D3F30008 1C220D66
	v_fma_f32 v80, v12, v4, v80                                // 00000000353C: D1CB0050 0542090C
	v_fma_f32 v81, v13, v4, v81                                // 000000003544: D1CB0051 0546090D
	v_fma_f32 v82, v14, v4, v82                                // 00000000354C: D1CB0052 054A090E
	v_fma_f32 v83, v15, v4, v83                                // 000000003554: D1CB0053 054E090F
	v_mfma_f32_16x16x32_fp8_fp8 v[12:15], a[104:105], a[0:1], 0// 00000000355C: D3F3000C 1A020168
	v_mfma_f32_16x16x32_fp8_fp8 v[12:15], a[106:107], a[2:3], v[12:15]// 000000003564: D3F3000C 1C32056A
	buffer_load_dwordx4 a[28:31], v35, s[24:27], 0 offen offset:1024// 00000000356C: E05C1400 80861C23
	v_mfma_f32_16x16x32_fp8_fp8 v[12:15], a[108:109], a[4:5], v[12:15]// 000000003574: D3F3000C 1C32096C
	v_mfma_f32_16x16x32_fp8_fp8 v[12:15], a[110:111], a[6:7], v[12:15]// 00000000357C: D3F3000C 1C320D6E
	v_fma_f32 v84, v8, v6, v84                                 // 000000003584: D1CB0054 05520D08
	v_fma_f32 v85, v9, v6, v85                                 // 00000000358C: D1CB0055 05560D09
	v_fma_f32 v86, v10, v6, v86                                // 000000003594: D1CB0056 055A0D0A
	v_fma_f32 v87, v11, v6, v87                                // 00000000359C: D1CB0057 055E0D0B
	v_mul_f32_dpp v4, v27, v31 row_newbcast:2 row_mask:0xf bank_mask:0xf// 0000000035A4: 0A083EFA FF01521B
	v_mfma_f32_16x16x32_fp8_fp8 v[8:11], a[112:113], a[0:1], 0 // 0000000035AC: D3F30008 1A020170
	v_mfma_f32_16x16x32_fp8_fp8 v[8:11], a[114:115], a[2:3], v[8:11]// 0000000035B4: D3F30008 1C220572
	buffer_load_dwordx4 a[32:35], v36, s[24:27], 0 offen       // 0000000035BC: E05C1000 80862024
	v_mfma_f32_16x16x32_fp8_fp8 v[8:11], a[116:117], a[4:5], v[8:11]// 0000000035C4: D3F30008 1C220974
	v_mfma_f32_16x16x32_fp8_fp8 v[8:11], a[118:119], a[6:7], v[8:11]// 0000000035CC: D3F30008 1C220D76
	v_fma_f32 v88, v12, v6, v88                                // 0000000035D4: D1CB0058 05620D0C
	v_fma_f32 v89, v13, v6, v89                                // 0000000035DC: D1CB0059 05660D0D
	v_fma_f32 v90, v14, v6, v90                                // 0000000035E4: D1CB005A 056A0D0E
	v_fma_f32 v91, v15, v6, v91                                // 0000000035EC: D1CB005B 056E0D0F
	v_mfma_f32_16x16x32_fp8_fp8 v[12:15], a[120:121], a[0:1], 0// 0000000035F4: D3F3000C 1A020178
	v_mfma_f32_16x16x32_fp8_fp8 v[12:15], a[122:123], a[2:3], v[12:15]// 0000000035FC: D3F3000C 1C32057A
	buffer_load_dwordx4 a[36:39], v36, s[24:27], 0 offen offset:1024// 000000003604: E05C1400 80862424
	v_mfma_f32_16x16x32_fp8_fp8 v[12:15], a[124:125], a[4:5], v[12:15]// 00000000360C: D3F3000C 1C32097C
	v_mfma_f32_16x16x32_fp8_fp8 v[12:15], a[126:127], a[6:7], v[12:15]// 000000003614: D3F3000C 1C320D7E
	v_fma_f32 v92, v8, v4, v92                                 // 00000000361C: D1CB005C 05720908
	v_fma_f32 v93, v9, v4, v93                                 // 000000003624: D1CB005D 05760909
	v_fma_f32 v94, v10, v4, v94                                // 00000000362C: D1CB005E 057A090A
	v_fma_f32 v95, v11, v4, v95                                // 000000003634: D1CB005F 057E090B
	v_mul_f32_dpp v6, v27, v31 row_newbcast:3 row_mask:0xf bank_mask:0xf// 00000000363C: 0A0C3EFA FF01531B
	v_mfma_f32_16x16x32_fp8_fp8 v[8:11], a[128:129], a[0:1], 0 // 000000003644: D3F30008 1A020180
	v_mfma_f32_16x16x32_fp8_fp8 v[8:11], a[130:131], a[2:3], v[8:11]// 00000000364C: D3F30008 1C220582
	buffer_load_dwordx4 a[40:43], v37, s[24:27], 0 offen       // 000000003654: E05C1000 80862825
	v_mfma_f32_16x16x32_fp8_fp8 v[8:11], a[132:133], a[4:5], v[8:11]// 00000000365C: D3F30008 1C220984
	s_add_u32 s60, 0x180, s80                                  // 000000003664: 803C50FF 00000180
	s_cmp_lt_u32 s60, s81                                      // 00000000366C: BF0A513C
	s_cselect_b32 s57, s57, 0                                  // 000000003670: 85398039
	s_cselect_b32 s3, s3, 0                                    // 000000003674: 85038003
	v_mfma_f32_16x16x32_fp8_fp8 v[8:11], a[134:135], a[6:7], v[8:11]// 000000003678: D3F30008 1C220D86
	s_add_u32 s60, 0x100, s80                                  // 000000003680: 803C50FF 00000100
	s_cmp_lt_u32 s60, s81                                      // 000000003688: BF0A513C
	s_cselect_b32 s58, s58, 0                                  // 00000000368C: 853A803A
	v_fma_f32 v96, v12, v4, v96                                // 000000003690: D1CB0060 0582090C
	v_fma_f32 v97, v13, v4, v97                                // 000000003698: D1CB0061 0586090D
	v_fma_f32 v98, v14, v4, v98                                // 0000000036A0: D1CB0062 058A090E
	v_fma_f32 v99, v15, v4, v99                                // 0000000036A8: D1CB0063 058E090F
	v_mfma_f32_16x16x32_fp8_fp8 v[12:15], a[136:137], a[0:1], 0// 0000000036B0: D3F3000C 1A020188
	v_mfma_f32_16x16x32_fp8_fp8 v[12:15], a[138:139], a[2:3], v[12:15]// 0000000036B8: D3F3000C 1C32058A
	buffer_load_dwordx4 a[44:47], v37, s[24:27], 0 offen offset:1024// 0000000036C0: E05C1400 80862C25
	s_add_u32 s20, s57, s20                                    // 0000000036C8: 80141439
	s_addc_u32 s21, 0, s21                                     // 0000000036CC: 82151580
	s_add_u32 s28, s3, s28                                     // 0000000036D0: 801C1C03
	s_addc_u32 s29, 0, s29                                     // 0000000036D4: 821D1D80
	v_mfma_f32_16x16x32_fp8_fp8 v[12:15], a[140:141], a[4:5], v[12:15]// 0000000036D8: D3F3000C 1C32098C
	s_add_u32 s84, s83, s84                                    // 0000000036E0: 80545453
	s_addc_u32 s85, 0, s85                                     // 0000000036E4: 82555580
	v_mfma_f32_16x16x32_fp8_fp8 v[12:15], a[142:143], a[6:7], v[12:15]// 0000000036E8: D3F3000C 1C320D8E
	v_fma_f32 v100, v8, v6, v100                               // 0000000036F0: D1CB0064 05920D08
	v_fma_f32 v101, v9, v6, v101                               // 0000000036F8: D1CB0065 05960D09
	v_fma_f32 v102, v10, v6, v102                              // 000000003700: D1CB0066 059A0D0A
	v_fma_f32 v103, v11, v6, v103                              // 000000003708: D1CB0067 059E0D0B
	v_fma_f32 v104, v12, v6, v104                              // 000000003710: D1CB0068 05A20D0C
	v_fma_f32 v105, v13, v6, v105                              // 000000003718: D1CB0069 05A60D0D
	v_fma_f32 v106, v14, v6, v106                              // 000000003720: D1CB006A 05AA0D0E
	v_fma_f32 v107, v15, v6, v107                              // 000000003728: D1CB006B 05AE0D0F
	buffer_load_dwordx4 a[48:51], v38, s[24:27], 0 offen       // 000000003730: E05C1000 80863026
	buffer_load_dwordx4 a[52:55], v38, s[24:27], 0 offen offset:1024// 000000003738: E05C1400 80863426
	buffer_load_dwordx4 a[56:59], v39, s[24:27], 0 offen       // 000000003740: E05C1000 80863827
	buffer_load_dwordx4 a[60:63], v39, s[24:27], 0 offen offset:1024// 000000003748: E05C1400 80863C27
	buffer_load_dwordx4 a[64:67], v40, s[24:27], 0 offen       // 000000003750: E05C1000 80864028
	buffer_load_dwordx4 a[68:71], v40, s[24:27], 0 offen offset:1024// 000000003758: E05C1400 80864428
	buffer_load_dwordx4 a[72:75], v41, s[24:27], 0 offen       // 000000003760: E05C1000 80864829
	buffer_load_dwordx4 a[76:79], v41, s[24:27], 0 offen offset:1024// 000000003768: E05C1400 80864C29
	s_add_u32 s24, s58, s24                                    // 000000003770: 8018183A
	s_addc_u32 s25, 0, s25                                     // 000000003774: 82191980
	s_addk_i32 s80, 0x80                                       // 000000003778: B7500080
	s_cmp_lt_i32 s80, s81                                      // 00000000377C: BF045150
	s_cbranch_scc0 label_04F1                                  // 000000003780: BF840190
	s_waitcnt vmcnt(14) lgkmcnt(0)                             // 000000003784: BF8C007E
	s_barrier                                                  // 000000003788: BF8A0000
	v_mov_b32_e32 v31, v30                                     // 00000000378C: 7E3E031E
	v_mul_f32_dpp v4, v24, v31 row_newbcast:0 row_mask:0xf bank_mask:0xf// 000000003790: 0A083EFA FF015018
	v_mfma_f32_16x16x32_fp8_fp8 v[8:11], a[16:17], a[8:9], 0   // 000000003798: D3F30008 1A021110
	buffer_load_dword v27, v23, s[32:35], 0 offen              // 0000000037A0: E0501000 80081B17
	v_mfma_f32_16x16x32_fp8_fp8 v[8:11], a[18:19], a[10:11], v[8:11]// 0000000037A8: D3F30008 1C221512
	buffer_load_dwordx4 a[80:83], v34, s[84:87], 0 offen       // 0000000037B0: E05C1000 80955022
	v_mfma_f32_16x16x32_fp8_fp8 v[8:11], a[20:21], a[12:13], v[8:11]// 0000000037B8: D3F30008 1C221914
	v_mfma_f32_16x16x32_fp8_fp8 v[8:11], a[22:23], a[14:15], v[8:11]// 0000000037C0: D3F30008 1C221D16
	s_waitcnt vmcnt(14)                                        // 0000000037C8: BF8C0F7E
	v_mul_f32_dpp v6, v24, v31 row_newbcast:0 row_mask:0xf bank_mask:0xf// 0000000037CC: 0A0C3EFA FF015018
	v_mfma_f32_16x16x32_fp8_fp8 v[12:15], a[24:25], a[8:9], 0  // 0000000037D4: D3F3000C 1A021118
	v_mfma_f32_16x16x32_fp8_fp8 v[12:15], a[26:27], a[10:11], v[12:15]// 0000000037DC: D3F3000C 1C32151A
	buffer_load_dwordx4 a[84:87], v34, s[84:87], 0 offen offset:1024// 0000000037E4: E05C1400 80955422
	v_mfma_f32_16x16x32_fp8_fp8 v[12:15], a[28:29], a[12:13], v[12:15]// 0000000037EC: D3F3000C 1C32191C
	v_mfma_f32_16x16x32_fp8_fp8 v[12:15], a[30:31], a[14:15], v[12:15]// 0000000037F4: D3F3000C 1C321D1E
	v_fma_f32 v44, v8, v4, v44                                 // 0000000037FC: D1CB002C 04B20908
	v_fma_f32 v45, v9, v4, v45                                 // 000000003804: D1CB002D 04B60909
	v_fma_f32 v46, v10, v4, v46                                // 00000000380C: D1CB002E 04BA090A
	v_fma_f32 v47, v11, v4, v47                                // 000000003814: D1CB002F 04BE090B
	s_waitcnt vmcnt(13)                                        // 00000000381C: BF8C0F7D
	v_mul_f32_dpp v4, v24, v31 row_newbcast:1 row_mask:0xf bank_mask:0xf// 000000003820: 0A083EFA FF015118
	v_mfma_f32_16x16x32_fp8_fp8 v[8:11], a[32:33], a[8:9], 0   // 000000003828: D3F30008 1A021120
	v_mfma_f32_16x16x32_fp8_fp8 v[8:11], a[34:35], a[10:11], v[8:11]// 000000003830: D3F30008 1C221522
	buffer_load_dwordx4 a[88:91], v35, s[84:87], 0 offen       // 000000003838: E05C1000 80955823
	v_mfma_f32_16x16x32_fp8_fp8 v[8:11], a[36:37], a[12:13], v[8:11]// 000000003840: D3F30008 1C221924
	v_mfma_f32_16x16x32_fp8_fp8 v[8:11], a[38:39], a[14:15], v[8:11]// 000000003848: D3F30008 1C221D26
	v_fma_f32 v48, v12, v6, v48                                // 000000003850: D1CB0030 04C20D0C
	v_fma_f32 v49, v13, v6, v49                                // 000000003858: D1CB0031 04C60D0D
	v_fma_f32 v50, v14, v6, v50                                // 000000003860: D1CB0032 04CA0D0E
	v_fma_f32 v51, v15, v6, v51                                // 000000003868: D1CB0033 04CE0D0F
	s_waitcnt vmcnt(12)                                        // 000000003870: BF8C0F7C
	v_mul_f32_dpp v6, v24, v31 row_newbcast:1 row_mask:0xf bank_mask:0xf// 000000003874: 0A0C3EFA FF015118
	v_mfma_f32_16x16x32_fp8_fp8 v[12:15], a[40:41], a[8:9], 0  // 00000000387C: D3F3000C 1A021128
	v_mfma_f32_16x16x32_fp8_fp8 v[12:15], a[42:43], a[10:11], v[12:15]// 000000003884: D3F3000C 1C32152A
	buffer_load_dwordx4 a[92:95], v35, s[84:87], 0 offen offset:1024// 00000000388C: E05C1400 80955C23
	v_mfma_f32_16x16x32_fp8_fp8 v[12:15], a[44:45], a[12:13], v[12:15]// 000000003894: D3F3000C 1C32192C
	v_mfma_f32_16x16x32_fp8_fp8 v[12:15], a[46:47], a[14:15], v[12:15]// 00000000389C: D3F3000C 1C321D2E
	v_fma_f32 v52, v8, v4, v52                                 // 0000000038A4: D1CB0034 04D20908
	v_fma_f32 v53, v9, v4, v53                                 // 0000000038AC: D1CB0035 04D60909
	v_fma_f32 v54, v10, v4, v54                                // 0000000038B4: D1CB0036 04DA090A
	v_fma_f32 v55, v11, v4, v55                                // 0000000038BC: D1CB0037 04DE090B
	s_waitcnt vmcnt(11)                                        // 0000000038C4: BF8C0F7B
	v_mul_f32_dpp v4, v24, v31 row_newbcast:2 row_mask:0xf bank_mask:0xf// 0000000038C8: 0A083EFA FF015218
	v_mfma_f32_16x16x32_fp8_fp8 v[8:11], a[48:49], a[8:9], 0   // 0000000038D0: D3F30008 1A021130
	v_mfma_f32_16x16x32_fp8_fp8 v[8:11], a[50:51], a[10:11], v[8:11]// 0000000038D8: D3F30008 1C221532
	buffer_load_dwordx4 a[96:99], v36, s[84:87], 0 offen       // 0000000038E0: E05C1000 80956024
	v_mfma_f32_16x16x32_fp8_fp8 v[8:11], a[52:53], a[12:13], v[8:11]// 0000000038E8: D3F30008 1C221934
	v_mfma_f32_16x16x32_fp8_fp8 v[8:11], a[54:55], a[14:15], v[8:11]// 0000000038F0: D3F30008 1C221D36
	v_fma_f32 v56, v12, v6, v56                                // 0000000038F8: D1CB0038 04E20D0C
	v_fma_f32 v57, v13, v6, v57                                // 000000003900: D1CB0039 04E60D0D
	v_fma_f32 v58, v14, v6, v58                                // 000000003908: D1CB003A 04EA0D0E
	v_fma_f32 v59, v15, v6, v59                                // 000000003910: D1CB003B 04EE0D0F
	s_waitcnt vmcnt(10)                                        // 000000003918: BF8C0F7A
	v_mul_f32_dpp v6, v24, v31 row_newbcast:2 row_mask:0xf bank_mask:0xf// 00000000391C: 0A0C3EFA FF015218
	v_mfma_f32_16x16x32_fp8_fp8 v[12:15], a[56:57], a[8:9], 0  // 000000003924: D3F3000C 1A021138
	v_mfma_f32_16x16x32_fp8_fp8 v[12:15], a[58:59], a[10:11], v[12:15]// 00000000392C: D3F3000C 1C32153A
	buffer_load_dwordx4 a[100:103], v36, s[84:87], 0 offen offset:1024// 000000003934: E05C1400 80956424
	v_mfma_f32_16x16x32_fp8_fp8 v[12:15], a[60:61], a[12:13], v[12:15]// 00000000393C: D3F3000C 1C32193C
	v_mfma_f32_16x16x32_fp8_fp8 v[12:15], a[62:63], a[14:15], v[12:15]// 000000003944: D3F3000C 1C321D3E
	v_fma_f32 v60, v8, v4, v60                                 // 00000000394C: D1CB003C 04F20908
	v_fma_f32 v61, v9, v4, v61                                 // 000000003954: D1CB003D 04F60909
	v_fma_f32 v62, v10, v4, v62                                // 00000000395C: D1CB003E 04FA090A
	v_fma_f32 v63, v11, v4, v63                                // 000000003964: D1CB003F 04FE090B
	s_waitcnt vmcnt(9)                                         // 00000000396C: BF8C0F79
	v_mul_f32_dpp v4, v24, v31 row_newbcast:3 row_mask:0xf bank_mask:0xf// 000000003970: 0A083EFA FF015318
	v_mfma_f32_16x16x32_fp8_fp8 v[8:11], a[64:65], a[8:9], 0   // 000000003978: D3F30008 1A021140
	v_mfma_f32_16x16x32_fp8_fp8 v[8:11], a[66:67], a[10:11], v[8:11]// 000000003980: D3F30008 1C221542
	buffer_load_dwordx4 a[104:107], v37, s[84:87], 0 offen     // 000000003988: E05C1000 80956825
	v_mfma_f32_16x16x32_fp8_fp8 v[8:11], a[68:69], a[12:13], v[8:11]// 000000003990: D3F30008 1C221944
	v_mfma_f32_16x16x32_fp8_fp8 v[8:11], a[70:71], a[14:15], v[8:11]// 000000003998: D3F30008 1C221D46
	v_fma_f32 v64, v12, v6, v64                                // 0000000039A0: D1CB0040 05020D0C
	v_fma_f32 v65, v13, v6, v65                                // 0000000039A8: D1CB0041 05060D0D
	v_fma_f32 v66, v14, v6, v66                                // 0000000039B0: D1CB0042 050A0D0E
	v_fma_f32 v67, v15, v6, v67                                // 0000000039B8: D1CB0043 050E0D0F
	s_waitcnt vmcnt(8)                                         // 0000000039C0: BF8C0F78
	v_mul_f32_dpp v6, v24, v31 row_newbcast:3 row_mask:0xf bank_mask:0xf// 0000000039C4: 0A0C3EFA FF015318
	v_mfma_f32_16x16x32_fp8_fp8 v[12:15], a[72:73], a[8:9], 0  // 0000000039CC: D3F3000C 1A021148
	v_mfma_f32_16x16x32_fp8_fp8 v[12:15], a[74:75], a[10:11], v[12:15]// 0000000039D4: D3F3000C 1C32154A
	buffer_load_dwordx4 a[108:111], v37, s[84:87], 0 offen offset:1024// 0000000039DC: E05C1400 80956C25
	s_add_u32 s60, 0x80, s80                                   // 0000000039E4: 803C50FF 00000080
	s_cmp_lt_u32 s60, s81                                      // 0000000039EC: BF0A513C
	s_cselect_b32 s83, s83, 0                                  // 0000000039F0: 85538053
	s_cselect_b32 s4, s4, 0                                    // 0000000039F4: 85048004
	v_mfma_f32_16x16x32_fp8_fp8 v[12:15], a[76:77], a[12:13], v[12:15]// 0000000039F8: D3F3000C 1C32194C
	s_add_u32 s32, s4, s32                                     // 000000003A00: 80202004
	s_addc_u32 s33, 0, s33                                     // 000000003A04: 82212180
	v_mfma_f32_16x16x32_fp8_fp8 v[12:15], a[78:79], a[14:15], v[12:15]// 000000003A08: D3F3000C 1C321D4E
	v_fma_f32 v68, v8, v4, v68                                 // 000000003A10: D1CB0044 05120908
	v_fma_f32 v69, v9, v4, v69                                 // 000000003A18: D1CB0045 05160909
	v_fma_f32 v70, v10, v4, v70                                // 000000003A20: D1CB0046 051A090A
	v_fma_f32 v71, v11, v4, v71                                // 000000003A28: D1CB0047 051E090B
	v_fma_f32 v72, v12, v6, v72                                // 000000003A30: D1CB0048 05220D0C
	v_fma_f32 v73, v13, v6, v73                                // 000000003A38: D1CB0049 05260D0D
	v_fma_f32 v74, v14, v6, v74                                // 000000003A40: D1CB004A 052A0D0E
	v_fma_f32 v75, v15, v6, v75                                // 000000003A48: D1CB004B 052E0D0F
	buffer_load_dwordx4 a[112:115], v38, s[84:87], 0 offen     // 000000003A50: E05C1000 80957026
	buffer_load_dwordx4 a[116:119], v38, s[84:87], 0 offen offset:1024// 000000003A58: E05C1400 80957426
	buffer_load_dwordx4 a[120:123], v39, s[84:87], 0 offen     // 000000003A60: E05C1000 80957827
	buffer_load_dwordx4 a[124:127], v39, s[84:87], 0 offen offset:1024// 000000003A68: E05C1400 80957C27
	buffer_load_dwordx4 a[128:131], v40, s[84:87], 0 offen     // 000000003A70: E05C1000 80958028
	buffer_load_dwordx4 a[132:135], v40, s[84:87], 0 offen offset:1024// 000000003A78: E05C1400 80958428
	buffer_load_dwordx4 a[136:139], v41, s[84:87], 0 offen     // 000000003A80: E05C1000 80958829
	buffer_load_dwordx4 a[140:143], v41, s[84:87], 0 offen offset:1024// 000000003A88: E05C1400 80958C29
	buffer_load_dword v32, s[20:23], 0 offen lds               // 000000003A90: E0511000 80050020
	s_add_u32 m0, 0x100, s49                                   // 000000003A98: 807C31FF 00000100
	buffer_load_dword v33, s[20:23], 0 offen lds               // 000000003AA0: E0511000 80050021
	s_add_u32 m0, 0, s48                                       // 000000003AA8: 807C3080
	buffer_load_dword v30, v28, s[28:31], 0 offen              // 000000003AAC: E0501000 80071E1C
	s_waitcnt vmcnt(3)                                         // 000000003AB4: BF8C0F73
	v_mul_f32_dpp v4, v27, v31 row_newbcast:0 row_mask:0xf bank_mask:0xf// 000000003AB8: 0A083EFA FF01501B
	v_mfma_f32_16x16x32_fp8_fp8 v[8:11], a[80:81], a[8:9], 0   // 000000003AC0: D3F30008 1A021150
	buffer_load_dword v24, v22, s[32:35], 0 offen              // 000000003AC8: E0501000 80081816
	v_mfma_f32_16x16x32_fp8_fp8 v[8:11], a[82:83], a[10:11], v[8:11]// 000000003AD0: D3F30008 1C221552
	buffer_load_dwordx4 a[16:19], v34, s[24:27], 0 offen       // 000000003AD8: E05C1000 80861022
	v_mfma_f32_16x16x32_fp8_fp8 v[8:11], a[84:85], a[12:13], v[8:11]// 000000003AE0: D3F30008 1C221954
	v_mfma_f32_16x16x32_fp8_fp8 v[8:11], a[86:87], a[14:15], v[8:11]// 000000003AE8: D3F30008 1C221D56
	ds_read_b128 a[0:3], v2                                    // 000000003AF0: DBFE0000 00000002
	ds_read_b128 a[4:7], v2 offset:64                          // 000000003AF8: DBFE0040 04000002
	v_mfma_f32_16x16x32_fp8_fp8 v[12:15], a[88:89], a[8:9], 0  // 000000003B00: D3F3000C 1A021158
	v_mfma_f32_16x16x32_fp8_fp8 v[12:15], a[90:91], a[10:11], v[12:15]// 000000003B08: D3F3000C 1C32155A
	buffer_load_dwordx4 a[20:23], v34, s[24:27], 0 offen offset:1024// 000000003B10: E05C1400 80861422
	v_mfma_f32_16x16x32_fp8_fp8 v[12:15], a[92:93], a[12:13], v[12:15]// 000000003B18: D3F3000C 1C32195C
	v_mfma_f32_16x16x32_fp8_fp8 v[12:15], a[94:95], a[14:15], v[12:15]// 000000003B20: D3F3000C 1C321D5E
	v_fma_f32 v76, v8, v4, v76                                 // 000000003B28: D1CB004C 05320908
	v_fma_f32 v77, v9, v4, v77                                 // 000000003B30: D1CB004D 05360909
	v_fma_f32 v78, v10, v4, v78                                // 000000003B38: D1CB004E 053A090A
	v_fma_f32 v79, v11, v4, v79                                // 000000003B40: D1CB004F 053E090B
	v_mul_f32_dpp v6, v27, v31 row_newbcast:1 row_mask:0xf bank_mask:0xf// 000000003B48: 0A0C3EFA FF01511B
	v_mfma_f32_16x16x32_fp8_fp8 v[8:11], a[96:97], a[8:9], 0   // 000000003B50: D3F30008 1A021160
	v_mfma_f32_16x16x32_fp8_fp8 v[8:11], a[98:99], a[10:11], v[8:11]// 000000003B58: D3F30008 1C221562
	buffer_load_dwordx4 a[24:27], v35, s[24:27], 0 offen       // 000000003B60: E05C1000 80861823
	v_mfma_f32_16x16x32_fp8_fp8 v[8:11], a[100:101], a[12:13], v[8:11]// 000000003B68: D3F30008 1C221964
	v_mfma_f32_16x16x32_fp8_fp8 v[8:11], a[102:103], a[14:15], v[8:11]// 000000003B70: D3F30008 1C221D66
	v_fma_f32 v80, v12, v4, v80                                // 000000003B78: D1CB0050 0542090C
	v_fma_f32 v81, v13, v4, v81                                // 000000003B80: D1CB0051 0546090D
	v_fma_f32 v82, v14, v4, v82                                // 000000003B88: D1CB0052 054A090E
	v_fma_f32 v83, v15, v4, v83                                // 000000003B90: D1CB0053 054E090F
	v_mfma_f32_16x16x32_fp8_fp8 v[12:15], a[104:105], a[8:9], 0// 000000003B98: D3F3000C 1A021168
	v_mfma_f32_16x16x32_fp8_fp8 v[12:15], a[106:107], a[10:11], v[12:15]// 000000003BA0: D3F3000C 1C32156A
	buffer_load_dwordx4 a[28:31], v35, s[24:27], 0 offen offset:1024// 000000003BA8: E05C1400 80861C23
	v_mfma_f32_16x16x32_fp8_fp8 v[12:15], a[108:109], a[12:13], v[12:15]// 000000003BB0: D3F3000C 1C32196C
	v_mfma_f32_16x16x32_fp8_fp8 v[12:15], a[110:111], a[14:15], v[12:15]// 000000003BB8: D3F3000C 1C321D6E
	v_fma_f32 v84, v8, v6, v84                                 // 000000003BC0: D1CB0054 05520D08
	v_fma_f32 v85, v9, v6, v85                                 // 000000003BC8: D1CB0055 05560D09
	v_fma_f32 v86, v10, v6, v86                                // 000000003BD0: D1CB0056 055A0D0A
	v_fma_f32 v87, v11, v6, v87                                // 000000003BD8: D1CB0057 055E0D0B
	v_mul_f32_dpp v4, v27, v31 row_newbcast:2 row_mask:0xf bank_mask:0xf// 000000003BE0: 0A083EFA FF01521B
	v_mfma_f32_16x16x32_fp8_fp8 v[8:11], a[112:113], a[8:9], 0 // 000000003BE8: D3F30008 1A021170
	v_mfma_f32_16x16x32_fp8_fp8 v[8:11], a[114:115], a[10:11], v[8:11]// 000000003BF0: D3F30008 1C221572
	buffer_load_dwordx4 a[32:35], v36, s[24:27], 0 offen       // 000000003BF8: E05C1000 80862024
	v_mfma_f32_16x16x32_fp8_fp8 v[8:11], a[116:117], a[12:13], v[8:11]// 000000003C00: D3F30008 1C221974
	v_mfma_f32_16x16x32_fp8_fp8 v[8:11], a[118:119], a[14:15], v[8:11]// 000000003C08: D3F30008 1C221D76
	v_fma_f32 v88, v12, v6, v88                                // 000000003C10: D1CB0058 05620D0C
	v_fma_f32 v89, v13, v6, v89                                // 000000003C18: D1CB0059 05660D0D
	v_fma_f32 v90, v14, v6, v90                                // 000000003C20: D1CB005A 056A0D0E
	v_fma_f32 v91, v15, v6, v91                                // 000000003C28: D1CB005B 056E0D0F
	v_mfma_f32_16x16x32_fp8_fp8 v[12:15], a[120:121], a[8:9], 0// 000000003C30: D3F3000C 1A021178
	v_mfma_f32_16x16x32_fp8_fp8 v[12:15], a[122:123], a[10:11], v[12:15]// 000000003C38: D3F3000C 1C32157A
	buffer_load_dwordx4 a[36:39], v36, s[24:27], 0 offen offset:1024// 000000003C40: E05C1400 80862424
	v_mfma_f32_16x16x32_fp8_fp8 v[12:15], a[124:125], a[12:13], v[12:15]// 000000003C48: D3F3000C 1C32197C
	v_mfma_f32_16x16x32_fp8_fp8 v[12:15], a[126:127], a[14:15], v[12:15]// 000000003C50: D3F3000C 1C321D7E
	v_fma_f32 v92, v8, v4, v92                                 // 000000003C58: D1CB005C 05720908
	v_fma_f32 v93, v9, v4, v93                                 // 000000003C60: D1CB005D 05760909
	v_fma_f32 v94, v10, v4, v94                                // 000000003C68: D1CB005E 057A090A
	v_fma_f32 v95, v11, v4, v95                                // 000000003C70: D1CB005F 057E090B
	v_mul_f32_dpp v6, v27, v31 row_newbcast:3 row_mask:0xf bank_mask:0xf// 000000003C78: 0A0C3EFA FF01531B
	v_mfma_f32_16x16x32_fp8_fp8 v[8:11], a[128:129], a[8:9], 0 // 000000003C80: D3F30008 1A021180
	v_mfma_f32_16x16x32_fp8_fp8 v[8:11], a[130:131], a[10:11], v[8:11]// 000000003C88: D3F30008 1C221582
	buffer_load_dwordx4 a[40:43], v37, s[24:27], 0 offen       // 000000003C90: E05C1000 80862825
	v_mfma_f32_16x16x32_fp8_fp8 v[8:11], a[132:133], a[12:13], v[8:11]// 000000003C98: D3F30008 1C221984
	s_add_u32 s60, 0x180, s80                                  // 000000003CA0: 803C50FF 00000180
	s_cmp_lt_u32 s60, s81                                      // 000000003CA8: BF0A513C
	s_cselect_b32 s57, s57, 0                                  // 000000003CAC: 85398039
	s_cselect_b32 s3, s3, 0                                    // 000000003CB0: 85038003
	v_mfma_f32_16x16x32_fp8_fp8 v[8:11], a[134:135], a[14:15], v[8:11]// 000000003CB4: D3F30008 1C221D86
	s_add_u32 s60, 0x100, s80                                  // 000000003CBC: 803C50FF 00000100
	s_cmp_lt_u32 s60, s81                                      // 000000003CC4: BF0A513C
	s_cselect_b32 s58, s58, 0                                  // 000000003CC8: 853A803A
	v_fma_f32 v96, v12, v4, v96                                // 000000003CCC: D1CB0060 0582090C
	v_fma_f32 v97, v13, v4, v97                                // 000000003CD4: D1CB0061 0586090D
	v_fma_f32 v98, v14, v4, v98                                // 000000003CDC: D1CB0062 058A090E
	v_fma_f32 v99, v15, v4, v99                                // 000000003CE4: D1CB0063 058E090F
	v_mfma_f32_16x16x32_fp8_fp8 v[12:15], a[136:137], a[8:9], 0// 000000003CEC: D3F3000C 1A021188
	v_mfma_f32_16x16x32_fp8_fp8 v[12:15], a[138:139], a[10:11], v[12:15]// 000000003CF4: D3F3000C 1C32158A
	buffer_load_dwordx4 a[44:47], v37, s[24:27], 0 offen offset:1024// 000000003CFC: E05C1400 80862C25
	s_add_u32 s20, s57, s20                                    // 000000003D04: 80141439
	s_addc_u32 s21, 0, s21                                     // 000000003D08: 82151580
	s_add_u32 s28, s3, s28                                     // 000000003D0C: 801C1C03
	s_addc_u32 s29, 0, s29                                     // 000000003D10: 821D1D80
	v_mfma_f32_16x16x32_fp8_fp8 v[12:15], a[140:141], a[12:13], v[12:15]// 000000003D14: D3F3000C 1C32198C
	s_add_u32 s84, s83, s84                                    // 000000003D1C: 80545453
	s_addc_u32 s85, 0, s85                                     // 000000003D20: 82555580
	v_mfma_f32_16x16x32_fp8_fp8 v[12:15], a[142:143], a[14:15], v[12:15]// 000000003D24: D3F3000C 1C321D8E
	v_fma_f32 v100, v8, v6, v100                               // 000000003D2C: D1CB0064 05920D08
	v_fma_f32 v101, v9, v6, v101                               // 000000003D34: D1CB0065 05960D09
	v_fma_f32 v102, v10, v6, v102                              // 000000003D3C: D1CB0066 059A0D0A
	v_fma_f32 v103, v11, v6, v103                              // 000000003D44: D1CB0067 059E0D0B
	v_fma_f32 v104, v12, v6, v104                              // 000000003D4C: D1CB0068 05A20D0C
	v_fma_f32 v105, v13, v6, v105                              // 000000003D54: D1CB0069 05A60D0D
	v_fma_f32 v106, v14, v6, v106                              // 000000003D5C: D1CB006A 05AA0D0E
	v_fma_f32 v107, v15, v6, v107                              // 000000003D64: D1CB006B 05AE0D0F
	buffer_load_dwordx4 a[48:51], v38, s[24:27], 0 offen       // 000000003D6C: E05C1000 80863026
	buffer_load_dwordx4 a[52:55], v38, s[24:27], 0 offen offset:1024// 000000003D74: E05C1400 80863426
	buffer_load_dwordx4 a[56:59], v39, s[24:27], 0 offen       // 000000003D7C: E05C1000 80863827
	buffer_load_dwordx4 a[60:63], v39, s[24:27], 0 offen offset:1024// 000000003D84: E05C1400 80863C27
	buffer_load_dwordx4 a[64:67], v40, s[24:27], 0 offen       // 000000003D8C: E05C1000 80864028
	buffer_load_dwordx4 a[68:71], v40, s[24:27], 0 offen offset:1024// 000000003D94: E05C1400 80864428
	buffer_load_dwordx4 a[72:75], v41, s[24:27], 0 offen       // 000000003D9C: E05C1000 80864829
	buffer_load_dwordx4 a[76:79], v41, s[24:27], 0 offen offset:1024// 000000003DA4: E05C1400 80864C29
	s_add_u32 s24, s58, s24                                    // 000000003DAC: 8018183A
	s_addc_u32 s25, 0, s25                                     // 000000003DB0: 82191980
	s_addk_i32 s80, 0x80                                       // 000000003DB4: B7500080
	s_cmp_lt_i32 s80, s81                                      // 000000003DB8: BF045150
	s_cbranch_scc0 label_04F1                                  // 000000003DBC: BF840001
	s_branch label_01D2                                        // 000000003DC0: BF82FCE1

0000000000003dc4 <label_04F1>:
	s_cmp_eq_u32 s88, 0                                        // 000000003DC4: BF068058
	s_cbranch_scc0 label_096A                                  // 000000003DC8: BF840477
	s_cmp_eq_u32 s89, 0                                        // 000000003DCC: BF068059
	s_cbranch_scc1 label_063A                                  // 000000003DD0: BF850145
	v_mov_b32_e32 v8, v1                                       // 000000003DD4: 7E100301
	v_mov_b32_e32 v9, v1                                       // 000000003DD8: 7E120301
	s_mov_b32 s60, s6                                          // 000000003DDC: BEBC0006
	s_mov_b32 s61, s6                                          // 000000003DE0: BEBD0006
	v_pk_mul_f32 v[4:5], v[44:45], v[44:45]                    // 000000003DE4: D3B14004 1802592C
	v_pk_mul_f32 v[6:7], v[46:47], v[46:47]                    // 000000003DEC: D3B14006 18025D2E
	v_pk_fma_f32 v[4:5], v[4:5], s[78:79], v[8:9]              // 000000003DF4: D3B04004 1C209D04
	v_pk_fma_f32 v[6:7], v[6:7], s[78:79], v[8:9]              // 000000003DFC: D3B04006 1C209D06
	v_pk_mul_f32 v[4:5], v[4:5], v[44:45]                      // 000000003E04: D3B14004 18025904
	v_pk_mul_f32 v[6:7], v[6:7], v[46:47]                      // 000000003E0C: D3B14006 18025D06
	v_pk_mul_f32 v[4:5], v[4:5], s[60:61]                      // 000000003E14: D3B14004 18007904
	v_pk_mul_f32 v[6:7], v[6:7], s[60:61]                      // 000000003E1C: D3B14006 18007906
	v_exp_f32_e32 v4, v4                                       // 000000003E24: 7E084104
	v_exp_f32_e32 v5, v5                                       // 000000003E28: 7E0A4105
	v_exp_f32_e32 v6, v6                                       // 000000003E2C: 7E0C4106
	v_exp_f32_e32 v7, v7                                       // 000000003E30: 7E0E4107
	v_add_f32_e64 v4, v4, 1.0                                  // 000000003E34: D1010004 0001E504
	v_add_f32_e64 v5, v5, 1.0                                  // 000000003E3C: D1010005 0001E505
	v_add_f32_e64 v6, v6, 1.0                                  // 000000003E44: D1010006 0001E506
	v_add_f32_e64 v7, v7, 1.0                                  // 000000003E4C: D1010007 0001E507
	v_rcp_f32_e32 v4, v4                                       // 000000003E54: 7E084504
	v_rcp_f32_e32 v5, v5                                       // 000000003E58: 7E0A4505
	v_rcp_f32_e32 v6, v6                                       // 000000003E5C: 7E0C4506
	v_rcp_f32_e32 v7, v7                                       // 000000003E60: 7E0E4507
	v_mul_f32_e32 v44, v44, v4                                 // 000000003E64: 0A58092C
	v_mul_f32_e32 v45, v45, v5                                 // 000000003E68: 0A5A0B2D
	v_mul_f32_e32 v46, v46, v6                                 // 000000003E6C: 0A5C0D2E
	v_mul_f32_e32 v47, v47, v7                                 // 000000003E70: 0A5E0F2F
	v_mul_f32_e32 v44, v44, v76                                // 000000003E74: 0A58992C
	v_mul_f32_e32 v45, v45, v77                                // 000000003E78: 0A5A9B2D
	v_mul_f32_e32 v46, v46, v78                                // 000000003E7C: 0A5C9D2E
	v_mul_f32_e32 v47, v47, v79                                // 000000003E80: 0A5E9F2F
	v_pk_mul_f32 v[4:5], v[48:49], v[48:49]                    // 000000003E84: D3B14004 18026130
	v_pk_mul_f32 v[6:7], v[50:51], v[50:51]                    // 000000003E8C: D3B14006 18026532
	v_pk_fma_f32 v[4:5], v[4:5], s[78:79], v[8:9]              // 000000003E94: D3B04004 1C209D04
	v_pk_fma_f32 v[6:7], v[6:7], s[78:79], v[8:9]              // 000000003E9C: D3B04006 1C209D06
	v_pk_mul_f32 v[4:5], v[4:5], v[48:49]                      // 000000003EA4: D3B14004 18026104
	v_pk_mul_f32 v[6:7], v[6:7], v[50:51]                      // 000000003EAC: D3B14006 18026506
	v_pk_mul_f32 v[4:5], v[4:5], s[60:61]                      // 000000003EB4: D3B14004 18007904
	v_pk_mul_f32 v[6:7], v[6:7], s[60:61]                      // 000000003EBC: D3B14006 18007906
	v_exp_f32_e32 v4, v4                                       // 000000003EC4: 7E084104
	v_exp_f32_e32 v5, v5                                       // 000000003EC8: 7E0A4105
	v_exp_f32_e32 v6, v6                                       // 000000003ECC: 7E0C4106
	v_exp_f32_e32 v7, v7                                       // 000000003ED0: 7E0E4107
	v_add_f32_e64 v4, v4, 1.0                                  // 000000003ED4: D1010004 0001E504
	v_add_f32_e64 v5, v5, 1.0                                  // 000000003EDC: D1010005 0001E505
	v_add_f32_e64 v6, v6, 1.0                                  // 000000003EE4: D1010006 0001E506
	v_add_f32_e64 v7, v7, 1.0                                  // 000000003EEC: D1010007 0001E507
	v_rcp_f32_e32 v4, v4                                       // 000000003EF4: 7E084504
	v_rcp_f32_e32 v5, v5                                       // 000000003EF8: 7E0A4505
	v_rcp_f32_e32 v6, v6                                       // 000000003EFC: 7E0C4506
	v_rcp_f32_e32 v7, v7                                       // 000000003F00: 7E0E4507
	v_mul_f32_e32 v48, v48, v4                                 // 000000003F04: 0A600930
	v_mul_f32_e32 v49, v49, v5                                 // 000000003F08: 0A620B31
	v_mul_f32_e32 v50, v50, v6                                 // 000000003F0C: 0A640D32
	v_mul_f32_e32 v51, v51, v7                                 // 000000003F10: 0A660F33
	v_mul_f32_e32 v48, v48, v80                                // 000000003F14: 0A60A130
	v_mul_f32_e32 v49, v49, v81                                // 000000003F18: 0A62A331
	v_mul_f32_e32 v50, v50, v82                                // 000000003F1C: 0A64A532
	v_mul_f32_e32 v51, v51, v83                                // 000000003F20: 0A66A733
	v_pk_mul_f32 v[4:5], v[52:53], v[52:53]                    // 000000003F24: D3B14004 18026934
	v_pk_mul_f32 v[6:7], v[54:55], v[54:55]                    // 000000003F2C: D3B14006 18026D36
	v_pk_fma_f32 v[4:5], v[4:5], s[78:79], v[8:9]              // 000000003F34: D3B04004 1C209D04
	v_pk_fma_f32 v[6:7], v[6:7], s[78:79], v[8:9]              // 000000003F3C: D3B04006 1C209D06
	v_pk_mul_f32 v[4:5], v[4:5], v[52:53]                      // 000000003F44: D3B14004 18026904
	v_pk_mul_f32 v[6:7], v[6:7], v[54:55]                      // 000000003F4C: D3B14006 18026D06
	v_pk_mul_f32 v[4:5], v[4:5], s[60:61]                      // 000000003F54: D3B14004 18007904
	v_pk_mul_f32 v[6:7], v[6:7], s[60:61]                      // 000000003F5C: D3B14006 18007906
	v_exp_f32_e32 v4, v4                                       // 000000003F64: 7E084104
	v_exp_f32_e32 v5, v5                                       // 000000003F68: 7E0A4105
	v_exp_f32_e32 v6, v6                                       // 000000003F6C: 7E0C4106
	v_exp_f32_e32 v7, v7                                       // 000000003F70: 7E0E4107
	v_add_f32_e64 v4, v4, 1.0                                  // 000000003F74: D1010004 0001E504
	v_add_f32_e64 v5, v5, 1.0                                  // 000000003F7C: D1010005 0001E505
	v_add_f32_e64 v6, v6, 1.0                                  // 000000003F84: D1010006 0001E506
	v_add_f32_e64 v7, v7, 1.0                                  // 000000003F8C: D1010007 0001E507
	v_rcp_f32_e32 v4, v4                                       // 000000003F94: 7E084504
	v_rcp_f32_e32 v5, v5                                       // 000000003F98: 7E0A4505
	v_rcp_f32_e32 v6, v6                                       // 000000003F9C: 7E0C4506
	v_rcp_f32_e32 v7, v7                                       // 000000003FA0: 7E0E4507
	v_mul_f32_e32 v52, v52, v4                                 // 000000003FA4: 0A680934
	v_mul_f32_e32 v53, v53, v5                                 // 000000003FA8: 0A6A0B35
	v_mul_f32_e32 v54, v54, v6                                 // 000000003FAC: 0A6C0D36
	v_mul_f32_e32 v55, v55, v7                                 // 000000003FB0: 0A6E0F37
	v_mul_f32_e32 v52, v52, v84                                // 000000003FB4: 0A68A934
	v_mul_f32_e32 v53, v53, v85                                // 000000003FB8: 0A6AAB35
	v_mul_f32_e32 v54, v54, v86                                // 000000003FBC: 0A6CAD36
	v_mul_f32_e32 v55, v55, v87                                // 000000003FC0: 0A6EAF37
	v_pk_mul_f32 v[4:5], v[56:57], v[56:57]                    // 000000003FC4: D3B14004 18027138
	v_pk_mul_f32 v[6:7], v[58:59], v[58:59]                    // 000000003FCC: D3B14006 1802753A
	v_pk_fma_f32 v[4:5], v[4:5], s[78:79], v[8:9]              // 000000003FD4: D3B04004 1C209D04
	v_pk_fma_f32 v[6:7], v[6:7], s[78:79], v[8:9]              // 000000003FDC: D3B04006 1C209D06
	v_pk_mul_f32 v[4:5], v[4:5], v[56:57]                      // 000000003FE4: D3B14004 18027104
	v_pk_mul_f32 v[6:7], v[6:7], v[58:59]                      // 000000003FEC: D3B14006 18027506
	v_pk_mul_f32 v[4:5], v[4:5], s[60:61]                      // 000000003FF4: D3B14004 18007904
	v_pk_mul_f32 v[6:7], v[6:7], s[60:61]                      // 000000003FFC: D3B14006 18007906
	v_exp_f32_e32 v4, v4                                       // 000000004004: 7E084104
	v_exp_f32_e32 v5, v5                                       // 000000004008: 7E0A4105
	v_exp_f32_e32 v6, v6                                       // 00000000400C: 7E0C4106
	v_exp_f32_e32 v7, v7                                       // 000000004010: 7E0E4107
	v_add_f32_e64 v4, v4, 1.0                                  // 000000004014: D1010004 0001E504
	v_add_f32_e64 v5, v5, 1.0                                  // 00000000401C: D1010005 0001E505
	v_add_f32_e64 v6, v6, 1.0                                  // 000000004024: D1010006 0001E506
	v_add_f32_e64 v7, v7, 1.0                                  // 00000000402C: D1010007 0001E507
	v_rcp_f32_e32 v4, v4                                       // 000000004034: 7E084504
	v_rcp_f32_e32 v5, v5                                       // 000000004038: 7E0A4505
	v_rcp_f32_e32 v6, v6                                       // 00000000403C: 7E0C4506
	v_rcp_f32_e32 v7, v7                                       // 000000004040: 7E0E4507
	v_mul_f32_e32 v56, v56, v4                                 // 000000004044: 0A700938
	v_mul_f32_e32 v57, v57, v5                                 // 000000004048: 0A720B39
	v_mul_f32_e32 v58, v58, v6                                 // 00000000404C: 0A740D3A
	v_mul_f32_e32 v59, v59, v7                                 // 000000004050: 0A760F3B
	v_mul_f32_e32 v56, v56, v88                                // 000000004054: 0A70B138
	v_mul_f32_e32 v57, v57, v89                                // 000000004058: 0A72B339
	v_mul_f32_e32 v58, v58, v90                                // 00000000405C: 0A74B53A
	v_mul_f32_e32 v59, v59, v91                                // 000000004060: 0A76B73B
	v_pk_mul_f32 v[4:5], v[60:61], v[60:61]                    // 000000004064: D3B14004 1802793C
	v_pk_mul_f32 v[6:7], v[62:63], v[62:63]                    // 00000000406C: D3B14006 18027D3E
	v_pk_fma_f32 v[4:5], v[4:5], s[78:79], v[8:9]              // 000000004074: D3B04004 1C209D04
	v_pk_fma_f32 v[6:7], v[6:7], s[78:79], v[8:9]              // 00000000407C: D3B04006 1C209D06
	v_pk_mul_f32 v[4:5], v[4:5], v[60:61]                      // 000000004084: D3B14004 18027904
	v_pk_mul_f32 v[6:7], v[6:7], v[62:63]                      // 00000000408C: D3B14006 18027D06
	v_pk_mul_f32 v[4:5], v[4:5], s[60:61]                      // 000000004094: D3B14004 18007904
	v_pk_mul_f32 v[6:7], v[6:7], s[60:61]                      // 00000000409C: D3B14006 18007906
	v_exp_f32_e32 v4, v4                                       // 0000000040A4: 7E084104
	v_exp_f32_e32 v5, v5                                       // 0000000040A8: 7E0A4105
	v_exp_f32_e32 v6, v6                                       // 0000000040AC: 7E0C4106
	v_exp_f32_e32 v7, v7                                       // 0000000040B0: 7E0E4107
	v_add_f32_e64 v4, v4, 1.0                                  // 0000000040B4: D1010004 0001E504
	v_add_f32_e64 v5, v5, 1.0                                  // 0000000040BC: D1010005 0001E505
	v_add_f32_e64 v6, v6, 1.0                                  // 0000000040C4: D1010006 0001E506
	v_add_f32_e64 v7, v7, 1.0                                  // 0000000040CC: D1010007 0001E507
	v_rcp_f32_e32 v4, v4                                       // 0000000040D4: 7E084504
	v_rcp_f32_e32 v5, v5                                       // 0000000040D8: 7E0A4505
	v_rcp_f32_e32 v6, v6                                       // 0000000040DC: 7E0C4506
	v_rcp_f32_e32 v7, v7                                       // 0000000040E0: 7E0E4507
	v_mul_f32_e32 v60, v60, v4                                 // 0000000040E4: 0A78093C
	v_mul_f32_e32 v61, v61, v5                                 // 0000000040E8: 0A7A0B3D
	v_mul_f32_e32 v62, v62, v6                                 // 0000000040EC: 0A7C0D3E
	v_mul_f32_e32 v63, v63, v7                                 // 0000000040F0: 0A7E0F3F
	v_mul_f32_e32 v60, v60, v92                                // 0000000040F4: 0A78B93C
	v_mul_f32_e32 v61, v61, v93                                // 0000000040F8: 0A7ABB3D
	v_mul_f32_e32 v62, v62, v94                                // 0000000040FC: 0A7CBD3E
	v_mul_f32_e32 v63, v63, v95                                // 000000004100: 0A7EBF3F
	v_pk_mul_f32 v[4:5], v[64:65], v[64:65]                    // 000000004104: D3B14004 18028140
	v_pk_mul_f32 v[6:7], v[66:67], v[66:67]                    // 00000000410C: D3B14006 18028542
	v_pk_fma_f32 v[4:5], v[4:5], s[78:79], v[8:9]              // 000000004114: D3B04004 1C209D04
	v_pk_fma_f32 v[6:7], v[6:7], s[78:79], v[8:9]              // 00000000411C: D3B04006 1C209D06
	v_pk_mul_f32 v[4:5], v[4:5], v[64:65]                      // 000000004124: D3B14004 18028104
	v_pk_mul_f32 v[6:7], v[6:7], v[66:67]                      // 00000000412C: D3B14006 18028506
	v_pk_mul_f32 v[4:5], v[4:5], s[60:61]                      // 000000004134: D3B14004 18007904
	v_pk_mul_f32 v[6:7], v[6:7], s[60:61]                      // 00000000413C: D3B14006 18007906
	v_exp_f32_e32 v4, v4                                       // 000000004144: 7E084104
	v_exp_f32_e32 v5, v5                                       // 000000004148: 7E0A4105
	v_exp_f32_e32 v6, v6                                       // 00000000414C: 7E0C4106
	v_exp_f32_e32 v7, v7                                       // 000000004150: 7E0E4107
	v_add_f32_e64 v4, v4, 1.0                                  // 000000004154: D1010004 0001E504
	v_add_f32_e64 v5, v5, 1.0                                  // 00000000415C: D1010005 0001E505
	v_add_f32_e64 v6, v6, 1.0                                  // 000000004164: D1010006 0001E506
	v_add_f32_e64 v7, v7, 1.0                                  // 00000000416C: D1010007 0001E507
	v_rcp_f32_e32 v4, v4                                       // 000000004174: 7E084504
	v_rcp_f32_e32 v5, v5                                       // 000000004178: 7E0A4505
	v_rcp_f32_e32 v6, v6                                       // 00000000417C: 7E0C4506
	v_rcp_f32_e32 v7, v7                                       // 000000004180: 7E0E4507
	v_mul_f32_e32 v64, v64, v4                                 // 000000004184: 0A800940
	v_mul_f32_e32 v65, v65, v5                                 // 000000004188: 0A820B41
	v_mul_f32_e32 v66, v66, v6                                 // 00000000418C: 0A840D42
	v_mul_f32_e32 v67, v67, v7                                 // 000000004190: 0A860F43
	v_mul_f32_e32 v64, v64, v96                                // 000000004194: 0A80C140
	v_mul_f32_e32 v65, v65, v97                                // 000000004198: 0A82C341
	v_mul_f32_e32 v66, v66, v98                                // 00000000419C: 0A84C542
	v_mul_f32_e32 v67, v67, v99                                // 0000000041A0: 0A86C743
	v_pk_mul_f32 v[4:5], v[68:69], v[68:69]                    // 0000000041A4: D3B14004 18028944
	v_pk_mul_f32 v[6:7], v[70:71], v[70:71]                    // 0000000041AC: D3B14006 18028D46
	v_pk_fma_f32 v[4:5], v[4:5], s[78:79], v[8:9]              // 0000000041B4: D3B04004 1C209D04
	v_pk_fma_f32 v[6:7], v[6:7], s[78:79], v[8:9]              // 0000000041BC: D3B04006 1C209D06
	v_pk_mul_f32 v[4:5], v[4:5], v[68:69]                      // 0000000041C4: D3B14004 18028904
	v_pk_mul_f32 v[6:7], v[6:7], v[70:71]                      // 0000000041CC: D3B14006 18028D06
	v_pk_mul_f32 v[4:5], v[4:5], s[60:61]                      // 0000000041D4: D3B14004 18007904
	v_pk_mul_f32 v[6:7], v[6:7], s[60:61]                      // 0000000041DC: D3B14006 18007906
	v_exp_f32_e32 v4, v4                                       // 0000000041E4: 7E084104
	v_exp_f32_e32 v5, v5                                       // 0000000041E8: 7E0A4105
	v_exp_f32_e32 v6, v6                                       // 0000000041EC: 7E0C4106
	v_exp_f32_e32 v7, v7                                       // 0000000041F0: 7E0E4107
	v_add_f32_e64 v4, v4, 1.0                                  // 0000000041F4: D1010004 0001E504
	v_add_f32_e64 v5, v5, 1.0                                  // 0000000041FC: D1010005 0001E505
	v_add_f32_e64 v6, v6, 1.0                                  // 000000004204: D1010006 0001E506
	v_add_f32_e64 v7, v7, 1.0                                  // 00000000420C: D1010007 0001E507
	v_rcp_f32_e32 v4, v4                                       // 000000004214: 7E084504
	v_rcp_f32_e32 v5, v5                                       // 000000004218: 7E0A4505
	v_rcp_f32_e32 v6, v6                                       // 00000000421C: 7E0C4506
	v_rcp_f32_e32 v7, v7                                       // 000000004220: 7E0E4507
	v_mul_f32_e32 v68, v68, v4                                 // 000000004224: 0A880944
	v_mul_f32_e32 v69, v69, v5                                 // 000000004228: 0A8A0B45
	v_mul_f32_e32 v70, v70, v6                                 // 00000000422C: 0A8C0D46
	v_mul_f32_e32 v71, v71, v7                                 // 000000004230: 0A8E0F47
	v_mul_f32_e32 v68, v68, v100                               // 000000004234: 0A88C944
	v_mul_f32_e32 v69, v69, v101                               // 000000004238: 0A8ACB45
	v_mul_f32_e32 v70, v70, v102                               // 00000000423C: 0A8CCD46
	v_mul_f32_e32 v71, v71, v103                               // 000000004240: 0A8ECF47
	v_pk_mul_f32 v[4:5], v[72:73], v[72:73]                    // 000000004244: D3B14004 18029148
	v_pk_mul_f32 v[6:7], v[74:75], v[74:75]                    // 00000000424C: D3B14006 1802954A
	v_pk_fma_f32 v[4:5], v[4:5], s[78:79], v[8:9]              // 000000004254: D3B04004 1C209D04
	v_pk_fma_f32 v[6:7], v[6:7], s[78:79], v[8:9]              // 00000000425C: D3B04006 1C209D06
	v_pk_mul_f32 v[4:5], v[4:5], v[72:73]                      // 000000004264: D3B14004 18029104
	v_pk_mul_f32 v[6:7], v[6:7], v[74:75]                      // 00000000426C: D3B14006 18029506
	v_pk_mul_f32 v[4:5], v[4:5], s[60:61]                      // 000000004274: D3B14004 18007904
	v_pk_mul_f32 v[6:7], v[6:7], s[60:61]                      // 00000000427C: D3B14006 18007906
	v_exp_f32_e32 v4, v4                                       // 000000004284: 7E084104
	v_exp_f32_e32 v5, v5                                       // 000000004288: 7E0A4105
	v_exp_f32_e32 v6, v6                                       // 00000000428C: 7E0C4106
	v_exp_f32_e32 v7, v7                                       // 000000004290: 7E0E4107
	v_add_f32_e64 v4, v4, 1.0                                  // 000000004294: D1010004 0001E504
	v_add_f32_e64 v5, v5, 1.0                                  // 00000000429C: D1010005 0001E505
	v_add_f32_e64 v6, v6, 1.0                                  // 0000000042A4: D1010006 0001E506
	v_add_f32_e64 v7, v7, 1.0                                  // 0000000042AC: D1010007 0001E507
	v_rcp_f32_e32 v4, v4                                       // 0000000042B4: 7E084504
	v_rcp_f32_e32 v5, v5                                       // 0000000042B8: 7E0A4505
	v_rcp_f32_e32 v6, v6                                       // 0000000042BC: 7E0C4506
	v_rcp_f32_e32 v7, v7                                       // 0000000042C0: 7E0E4507
	v_mul_f32_e32 v72, v72, v4                                 // 0000000042C4: 0A900948
	v_mul_f32_e32 v73, v73, v5                                 // 0000000042C8: 0A920B49
	v_mul_f32_e32 v74, v74, v6                                 // 0000000042CC: 0A940D4A
	v_mul_f32_e32 v75, v75, v7                                 // 0000000042D0: 0A960F4B
	v_mul_f32_e32 v72, v72, v104                               // 0000000042D4: 0A90D148
	v_mul_f32_e32 v73, v73, v105                               // 0000000042D8: 0A92D349
	v_mul_f32_e32 v74, v74, v106                               // 0000000042DC: 0A94D54A
	v_mul_f32_e32 v75, v75, v107                               // 0000000042E0: 0A96D74B
	s_branch label_073A                                        // 0000000042E4: BF820100

00000000000042e8 <label_063A>:
	v_mul_f32_e64 v4, -v44, s6                                 // 0000000042E8: D1050004 20000D2C
	v_mul_f32_e64 v5, -v45, s6                                 // 0000000042F0: D1050005 20000D2D
	v_mul_f32_e64 v6, -v46, s6                                 // 0000000042F8: D1050006 20000D2E
	v_mul_f32_e64 v7, -v47, s6                                 // 000000004300: D1050007 20000D2F
	v_exp_f32_e32 v4, v4                                       // 000000004308: 7E084104
	v_exp_f32_e32 v5, v5                                       // 00000000430C: 7E0A4105
	v_exp_f32_e32 v6, v6                                       // 000000004310: 7E0C4106
	v_exp_f32_e32 v7, v7                                       // 000000004314: 7E0E4107
	v_add_f32_e64 v4, v4, 1.0                                  // 000000004318: D1010004 0001E504
	v_add_f32_e64 v5, v5, 1.0                                  // 000000004320: D1010005 0001E505
	v_add_f32_e64 v6, v6, 1.0                                  // 000000004328: D1010006 0001E506
	v_add_f32_e64 v7, v7, 1.0                                  // 000000004330: D1010007 0001E507
	v_rcp_f32_e32 v4, v4                                       // 000000004338: 7E084504
	v_rcp_f32_e32 v5, v5                                       // 00000000433C: 7E0A4505
	v_rcp_f32_e32 v6, v6                                       // 000000004340: 7E0C4506
	v_rcp_f32_e32 v7, v7                                       // 000000004344: 7E0E4507
	v_mul_f32_e32 v44, v44, v4                                 // 000000004348: 0A58092C
	v_mul_f32_e32 v45, v45, v5                                 // 00000000434C: 0A5A0B2D
	v_mul_f32_e32 v46, v46, v6                                 // 000000004350: 0A5C0D2E
	v_mul_f32_e32 v47, v47, v7                                 // 000000004354: 0A5E0F2F
	v_mul_f32_e32 v44, v44, v76                                // 000000004358: 0A58992C
	v_mul_f32_e32 v45, v45, v77                                // 00000000435C: 0A5A9B2D
	v_mul_f32_e32 v46, v46, v78                                // 000000004360: 0A5C9D2E
	v_mul_f32_e32 v47, v47, v79                                // 000000004364: 0A5E9F2F
	v_mul_f32_e64 v4, -v48, s6                                 // 000000004368: D1050004 20000D30
	v_mul_f32_e64 v5, -v49, s6                                 // 000000004370: D1050005 20000D31
	v_mul_f32_e64 v6, -v50, s6                                 // 000000004378: D1050006 20000D32
	v_mul_f32_e64 v7, -v51, s6                                 // 000000004380: D1050007 20000D33
	v_exp_f32_e32 v4, v4                                       // 000000004388: 7E084104
	v_exp_f32_e32 v5, v5                                       // 00000000438C: 7E0A4105
	v_exp_f32_e32 v6, v6                                       // 000000004390: 7E0C4106
	v_exp_f32_e32 v7, v7                                       // 000000004394: 7E0E4107
	v_add_f32_e64 v4, v4, 1.0                                  // 000000004398: D1010004 0001E504
	v_add_f32_e64 v5, v5, 1.0                                  // 0000000043A0: D1010005 0001E505
	v_add_f32_e64 v6, v6, 1.0                                  // 0000000043A8: D1010006 0001E506
	v_add_f32_e64 v7, v7, 1.0                                  // 0000000043B0: D1010007 0001E507
	v_rcp_f32_e32 v4, v4                                       // 0000000043B8: 7E084504
	v_rcp_f32_e32 v5, v5                                       // 0000000043BC: 7E0A4505
	v_rcp_f32_e32 v6, v6                                       // 0000000043C0: 7E0C4506
	v_rcp_f32_e32 v7, v7                                       // 0000000043C4: 7E0E4507
	v_mul_f32_e32 v48, v48, v4                                 // 0000000043C8: 0A600930
	v_mul_f32_e32 v49, v49, v5                                 // 0000000043CC: 0A620B31
	v_mul_f32_e32 v50, v50, v6                                 // 0000000043D0: 0A640D32
	v_mul_f32_e32 v51, v51, v7                                 // 0000000043D4: 0A660F33
	v_mul_f32_e32 v48, v48, v80                                // 0000000043D8: 0A60A130
	v_mul_f32_e32 v49, v49, v81                                // 0000000043DC: 0A62A331
	v_mul_f32_e32 v50, v50, v82                                // 0000000043E0: 0A64A532
	v_mul_f32_e32 v51, v51, v83                                // 0000000043E4: 0A66A733
	v_mul_f32_e64 v4, -v52, s6                                 // 0000000043E8: D1050004 20000D34
	v_mul_f32_e64 v5, -v53, s6                                 // 0000000043F0: D1050005 20000D35
	v_mul_f32_e64 v6, -v54, s6                                 // 0000000043F8: D1050006 20000D36
	v_mul_f32_e64 v7, -v55, s6                                 // 000000004400: D1050007 20000D37
	v_exp_f32_e32 v4, v4                                       // 000000004408: 7E084104
	v_exp_f32_e32 v5, v5                                       // 00000000440C: 7E0A4105
	v_exp_f32_e32 v6, v6                                       // 000000004410: 7E0C4106
	v_exp_f32_e32 v7, v7                                       // 000000004414: 7E0E4107
	v_add_f32_e64 v4, v4, 1.0                                  // 000000004418: D1010004 0001E504
	v_add_f32_e64 v5, v5, 1.0                                  // 000000004420: D1010005 0001E505
	v_add_f32_e64 v6, v6, 1.0                                  // 000000004428: D1010006 0001E506
	v_add_f32_e64 v7, v7, 1.0                                  // 000000004430: D1010007 0001E507
	v_rcp_f32_e32 v4, v4                                       // 000000004438: 7E084504
	v_rcp_f32_e32 v5, v5                                       // 00000000443C: 7E0A4505
	v_rcp_f32_e32 v6, v6                                       // 000000004440: 7E0C4506
	v_rcp_f32_e32 v7, v7                                       // 000000004444: 7E0E4507
	v_mul_f32_e32 v52, v52, v4                                 // 000000004448: 0A680934
	v_mul_f32_e32 v53, v53, v5                                 // 00000000444C: 0A6A0B35
	v_mul_f32_e32 v54, v54, v6                                 // 000000004450: 0A6C0D36
	v_mul_f32_e32 v55, v55, v7                                 // 000000004454: 0A6E0F37
	v_mul_f32_e32 v52, v52, v84                                // 000000004458: 0A68A934
	v_mul_f32_e32 v53, v53, v85                                // 00000000445C: 0A6AAB35
	v_mul_f32_e32 v54, v54, v86                                // 000000004460: 0A6CAD36
	v_mul_f32_e32 v55, v55, v87                                // 000000004464: 0A6EAF37
	v_mul_f32_e64 v4, -v56, s6                                 // 000000004468: D1050004 20000D38
	v_mul_f32_e64 v5, -v57, s6                                 // 000000004470: D1050005 20000D39
	v_mul_f32_e64 v6, -v58, s6                                 // 000000004478: D1050006 20000D3A
	v_mul_f32_e64 v7, -v59, s6                                 // 000000004480: D1050007 20000D3B
	v_exp_f32_e32 v4, v4                                       // 000000004488: 7E084104
	v_exp_f32_e32 v5, v5                                       // 00000000448C: 7E0A4105
	v_exp_f32_e32 v6, v6                                       // 000000004490: 7E0C4106
	v_exp_f32_e32 v7, v7                                       // 000000004494: 7E0E4107
	v_add_f32_e64 v4, v4, 1.0                                  // 000000004498: D1010004 0001E504
	v_add_f32_e64 v5, v5, 1.0                                  // 0000000044A0: D1010005 0001E505
	v_add_f32_e64 v6, v6, 1.0                                  // 0000000044A8: D1010006 0001E506
	v_add_f32_e64 v7, v7, 1.0                                  // 0000000044B0: D1010007 0001E507
	v_rcp_f32_e32 v4, v4                                       // 0000000044B8: 7E084504
	v_rcp_f32_e32 v5, v5                                       // 0000000044BC: 7E0A4505
	v_rcp_f32_e32 v6, v6                                       // 0000000044C0: 7E0C4506
	v_rcp_f32_e32 v7, v7                                       // 0000000044C4: 7E0E4507
	v_mul_f32_e32 v56, v56, v4                                 // 0000000044C8: 0A700938
	v_mul_f32_e32 v57, v57, v5                                 // 0000000044CC: 0A720B39
	v_mul_f32_e32 v58, v58, v6                                 // 0000000044D0: 0A740D3A
	v_mul_f32_e32 v59, v59, v7                                 // 0000000044D4: 0A760F3B
	v_mul_f32_e32 v56, v56, v88                                // 0000000044D8: 0A70B138
	v_mul_f32_e32 v57, v57, v89                                // 0000000044DC: 0A72B339
	v_mul_f32_e32 v58, v58, v90                                // 0000000044E0: 0A74B53A
	v_mul_f32_e32 v59, v59, v91                                // 0000000044E4: 0A76B73B
	v_mul_f32_e64 v4, -v60, s6                                 // 0000000044E8: D1050004 20000D3C
	v_mul_f32_e64 v5, -v61, s6                                 // 0000000044F0: D1050005 20000D3D
	v_mul_f32_e64 v6, -v62, s6                                 // 0000000044F8: D1050006 20000D3E
	v_mul_f32_e64 v7, -v63, s6                                 // 000000004500: D1050007 20000D3F
	v_exp_f32_e32 v4, v4                                       // 000000004508: 7E084104
	v_exp_f32_e32 v5, v5                                       // 00000000450C: 7E0A4105
	v_exp_f32_e32 v6, v6                                       // 000000004510: 7E0C4106
	v_exp_f32_e32 v7, v7                                       // 000000004514: 7E0E4107
	v_add_f32_e64 v4, v4, 1.0                                  // 000000004518: D1010004 0001E504
	v_add_f32_e64 v5, v5, 1.0                                  // 000000004520: D1010005 0001E505
	v_add_f32_e64 v6, v6, 1.0                                  // 000000004528: D1010006 0001E506
	v_add_f32_e64 v7, v7, 1.0                                  // 000000004530: D1010007 0001E507
	v_rcp_f32_e32 v4, v4                                       // 000000004538: 7E084504
	v_rcp_f32_e32 v5, v5                                       // 00000000453C: 7E0A4505
	v_rcp_f32_e32 v6, v6                                       // 000000004540: 7E0C4506
	v_rcp_f32_e32 v7, v7                                       // 000000004544: 7E0E4507
	v_mul_f32_e32 v60, v60, v4                                 // 000000004548: 0A78093C
	v_mul_f32_e32 v61, v61, v5                                 // 00000000454C: 0A7A0B3D
	v_mul_f32_e32 v62, v62, v6                                 // 000000004550: 0A7C0D3E
	v_mul_f32_e32 v63, v63, v7                                 // 000000004554: 0A7E0F3F
	v_mul_f32_e32 v60, v60, v92                                // 000000004558: 0A78B93C
	v_mul_f32_e32 v61, v61, v93                                // 00000000455C: 0A7ABB3D
	v_mul_f32_e32 v62, v62, v94                                // 000000004560: 0A7CBD3E
	v_mul_f32_e32 v63, v63, v95                                // 000000004564: 0A7EBF3F
	v_mul_f32_e64 v4, -v64, s6                                 // 000000004568: D1050004 20000D40
	v_mul_f32_e64 v5, -v65, s6                                 // 000000004570: D1050005 20000D41
	v_mul_f32_e64 v6, -v66, s6                                 // 000000004578: D1050006 20000D42
	v_mul_f32_e64 v7, -v67, s6                                 // 000000004580: D1050007 20000D43
	v_exp_f32_e32 v4, v4                                       // 000000004588: 7E084104
	v_exp_f32_e32 v5, v5                                       // 00000000458C: 7E0A4105
	v_exp_f32_e32 v6, v6                                       // 000000004590: 7E0C4106
	v_exp_f32_e32 v7, v7                                       // 000000004594: 7E0E4107
	v_add_f32_e64 v4, v4, 1.0                                  // 000000004598: D1010004 0001E504
	v_add_f32_e64 v5, v5, 1.0                                  // 0000000045A0: D1010005 0001E505
	v_add_f32_e64 v6, v6, 1.0                                  // 0000000045A8: D1010006 0001E506
	v_add_f32_e64 v7, v7, 1.0                                  // 0000000045B0: D1010007 0001E507
	v_rcp_f32_e32 v4, v4                                       // 0000000045B8: 7E084504
	v_rcp_f32_e32 v5, v5                                       // 0000000045BC: 7E0A4505
	v_rcp_f32_e32 v6, v6                                       // 0000000045C0: 7E0C4506
	v_rcp_f32_e32 v7, v7                                       // 0000000045C4: 7E0E4507
	v_mul_f32_e32 v64, v64, v4                                 // 0000000045C8: 0A800940
	v_mul_f32_e32 v65, v65, v5                                 // 0000000045CC: 0A820B41
	v_mul_f32_e32 v66, v66, v6                                 // 0000000045D0: 0A840D42
	v_mul_f32_e32 v67, v67, v7                                 // 0000000045D4: 0A860F43
	v_mul_f32_e32 v64, v64, v96                                // 0000000045D8: 0A80C140
	v_mul_f32_e32 v65, v65, v97                                // 0000000045DC: 0A82C341
	v_mul_f32_e32 v66, v66, v98                                // 0000000045E0: 0A84C542
	v_mul_f32_e32 v67, v67, v99                                // 0000000045E4: 0A86C743
	v_mul_f32_e64 v4, -v68, s6                                 // 0000000045E8: D1050004 20000D44
	v_mul_f32_e64 v5, -v69, s6                                 // 0000000045F0: D1050005 20000D45
	v_mul_f32_e64 v6, -v70, s6                                 // 0000000045F8: D1050006 20000D46
	v_mul_f32_e64 v7, -v71, s6                                 // 000000004600: D1050007 20000D47
	v_exp_f32_e32 v4, v4                                       // 000000004608: 7E084104
	v_exp_f32_e32 v5, v5                                       // 00000000460C: 7E0A4105
	v_exp_f32_e32 v6, v6                                       // 000000004610: 7E0C4106
	v_exp_f32_e32 v7, v7                                       // 000000004614: 7E0E4107
	v_add_f32_e64 v4, v4, 1.0                                  // 000000004618: D1010004 0001E504
	v_add_f32_e64 v5, v5, 1.0                                  // 000000004620: D1010005 0001E505
	v_add_f32_e64 v6, v6, 1.0                                  // 000000004628: D1010006 0001E506
	v_add_f32_e64 v7, v7, 1.0                                  // 000000004630: D1010007 0001E507
	v_rcp_f32_e32 v4, v4                                       // 000000004638: 7E084504
	v_rcp_f32_e32 v5, v5                                       // 00000000463C: 7E0A4505
	v_rcp_f32_e32 v6, v6                                       // 000000004640: 7E0C4506
	v_rcp_f32_e32 v7, v7                                       // 000000004644: 7E0E4507
	v_mul_f32_e32 v68, v68, v4                                 // 000000004648: 0A880944
	v_mul_f32_e32 v69, v69, v5                                 // 00000000464C: 0A8A0B45
	v_mul_f32_e32 v70, v70, v6                                 // 000000004650: 0A8C0D46
	v_mul_f32_e32 v71, v71, v7                                 // 000000004654: 0A8E0F47
	v_mul_f32_e32 v68, v68, v100                               // 000000004658: 0A88C944
	v_mul_f32_e32 v69, v69, v101                               // 00000000465C: 0A8ACB45
	v_mul_f32_e32 v70, v70, v102                               // 000000004660: 0A8CCD46
	v_mul_f32_e32 v71, v71, v103                               // 000000004664: 0A8ECF47
	v_mul_f32_e64 v4, -v72, s6                                 // 000000004668: D1050004 20000D48
	v_mul_f32_e64 v5, -v73, s6                                 // 000000004670: D1050005 20000D49
	v_mul_f32_e64 v6, -v74, s6                                 // 000000004678: D1050006 20000D4A
	v_mul_f32_e64 v7, -v75, s6                                 // 000000004680: D1050007 20000D4B
	v_exp_f32_e32 v4, v4                                       // 000000004688: 7E084104
	v_exp_f32_e32 v5, v5                                       // 00000000468C: 7E0A4105
	v_exp_f32_e32 v6, v6                                       // 000000004690: 7E0C4106
	v_exp_f32_e32 v7, v7                                       // 000000004694: 7E0E4107
	v_add_f32_e64 v4, v4, 1.0                                  // 000000004698: D1010004 0001E504
	v_add_f32_e64 v5, v5, 1.0                                  // 0000000046A0: D1010005 0001E505
	v_add_f32_e64 v6, v6, 1.0                                  // 0000000046A8: D1010006 0001E506
	v_add_f32_e64 v7, v7, 1.0                                  // 0000000046B0: D1010007 0001E507
	v_rcp_f32_e32 v4, v4                                       // 0000000046B8: 7E084504
	v_rcp_f32_e32 v5, v5                                       // 0000000046BC: 7E0A4505
	v_rcp_f32_e32 v6, v6                                       // 0000000046C0: 7E0C4506
	v_rcp_f32_e32 v7, v7                                       // 0000000046C4: 7E0E4507
	v_mul_f32_e32 v72, v72, v4                                 // 0000000046C8: 0A900948
	v_mul_f32_e32 v73, v73, v5                                 // 0000000046CC: 0A920B49
	v_mul_f32_e32 v74, v74, v6                                 // 0000000046D0: 0A940D4A
	v_mul_f32_e32 v75, v75, v7                                 // 0000000046D4: 0A960F4B
	v_mul_f32_e32 v72, v72, v104                               // 0000000046D8: 0A90D148
	v_mul_f32_e32 v73, v73, v105                               // 0000000046DC: 0A92D349
	v_mul_f32_e32 v74, v74, v106                               // 0000000046E0: 0A94D54A
	v_mul_f32_e32 v75, v75, v107                               // 0000000046E4: 0A96D74B

00000000000046e8 <label_073A>:
	s_cmp_eq_u32 s7, 0                                         // 0000000046E8: BF068007
	s_cbranch_scc0 label_0741                                  // 0000000046EC: BF840005
	v_and_b32_e32 v4, 15, v0                                   // 0000000046F0: 2608008F
	v_lshlrev_b32_e32 v4, 2, v4                                // 0000000046F4: 24080882
	buffer_load_dword v28, v4, s[12:15], 0 offen               // 0000000046F8: E0501000 80031C04
	v_add_u32_e32 v4, 64, v4                                   // 000000004700: 680808C0

0000000000004704 <label_0741>:
	v_lshlrev_b32_e32 v4, 2, v0                                // 000000004704: 24080082
	s_mul_i32 s60, 0x100, s7                                   // 000000004708: 923C07FF 00000100
	v_add_u32_e32 v80, s60, v4                                 // 000000004710: 68A0083C
	v_and_b32_e32 v4, 15, v0                                   // 000000004714: 2608008F
	v_lshlrev_b32_e32 v81, 2, v4                               // 000000004718: 24A20882
	s_waitcnt lgkmcnt(0)                                       // 00000000471C: BF8CC07F
	s_barrier                                                  // 000000004720: BF8A0000
	v_mov_b32_e32 v76, 0x358637bd                              // 000000004724: 7E9802FF 358637BD
	v_max3_f32 v76, |v44|, |v45|, v76                          // 00000000472C: D1D3034C 05325B2C
	v_max3_f32 v76, |v46|, |v47|, v76                          // 000000004734: D1D3034C 05325F2E
	v_max3_f32 v76, |v48|, |v49|, v76                          // 00000000473C: D1D3034C 05326330
	v_max3_f32 v76, |v50|, |v51|, v76                          // 000000004744: D1D3034C 05326732
	ds_write_b32 v80, v76                                      // 00000000474C: D81A0000 00004C50
	s_waitcnt lgkmcnt(0)                                       // 000000004754: BF8CC07F
	s_barrier                                                  // 000000004758: BF8A0000
	ds_read_b32 v4, v81                                        // 00000000475C: D86C0000 04000051
	ds_read_b32 v5, v81 offset:64                              // 000000004764: D86C0040 05000051
	ds_read_b32 v6, v81 offset:128                             // 00000000476C: D86C0080 06000051
	ds_read_b32 v7, v81 offset:192                             // 000000004774: D86C00C0 07000051
	ds_read_b32 v8, v81 offset:256                             // 00000000477C: D86C0100 08000051
	ds_read_b32 v9, v81 offset:320                             // 000000004784: D86C0140 09000051
	ds_read_b32 v10, v81 offset:384                            // 00000000478C: D86C0180 0A000051
	ds_read_b32 v11, v81 offset:448                            // 000000004794: D86C01C0 0B000051
	ds_read_b32 v12, v81 offset:512                            // 00000000479C: D86C0200 0C000051
	ds_read_b32 v13, v81 offset:576                            // 0000000047A4: D86C0240 0D000051
	ds_read_b32 v14, v81 offset:640                            // 0000000047AC: D86C0280 0E000051
	ds_read_b32 v15, v81 offset:704                            // 0000000047B4: D86C02C0 0F000051
	ds_read_b32 v16, v81 offset:768                            // 0000000047BC: D86C0300 10000051
	ds_read_b32 v17, v81 offset:832                            // 0000000047C4: D86C0340 11000051
	ds_read_b32 v18, v81 offset:896                            // 0000000047CC: D86C0380 12000051
	ds_read_b32 v19, v81 offset:960                            // 0000000047D4: D86C03C0 13000051
	s_waitcnt lgkmcnt(0)                                       // 0000000047DC: BF8CC07F
	s_barrier                                                  // 0000000047E0: BF8A0000
	v_max3_f32 v76, |v4|, |v5|, v76                            // 0000000047E4: D1D3034C 05320B04
	v_max3_f32 v76, |v6|, |v7|, v76                            // 0000000047EC: D1D3034C 05320F06
	v_max3_f32 v76, |v8|, |v9|, v76                            // 0000000047F4: D1D3034C 05321308
	v_max3_f32 v76, |v10|, |v11|, v76                          // 0000000047FC: D1D3034C 0532170A
	v_max3_f32 v76, |v12|, |v13|, v76                          // 000000004804: D1D3034C 05321B0C
	v_max3_f32 v76, |v14|, |v15|, v76                          // 00000000480C: D1D3034C 05321F0E
	v_max3_f32 v76, |v16|, |v17|, v76                          // 000000004814: D1D3034C 05322310
	v_max3_f32 v76, |v18|, |v19|, v76                          // 00000000481C: D1D3034C 05322712
	v_rcp_f32_e32 v76, v76                                     // 000000004824: 7E98454C
	v_mov_b32_e32 v4, 0x43700000                               // 000000004828: 7E0802FF 43700000
	v_mul_f32_e32 v76, v4, v76                                 // 000000004830: 0A989904
	v_mov_b32_e32 v4, v76                                      // 000000004834: 7E08034C
	v_mov_b32_e32 v5, v4                                       // 000000004838: 7E0A0304
	v_pk_mul_f32 v[44:45], v[4:5], v[44:45]                    // 00000000483C: D3B1402C 18025904
	v_pk_mul_f32 v[46:47], v[4:5], v[46:47]                    // 000000004844: D3B1402E 18025D04
	v_cvt_pk_fp8_f32 v44, v44, v45                             // 00000000484C: D2A2002C 00025B2C
	v_cvt_pk_fp8_f32 v44, v46, v47 op_sel:[0,0,1]              // 000000004854: D2A2402C 00025F2E
	v_pk_mul_f32 v[48:49], v[4:5], v[48:49]                    // 00000000485C: D3B14030 18026104
	v_pk_mul_f32 v[50:51], v[4:5], v[50:51]                    // 000000004864: D3B14032 18026504
	v_cvt_pk_fp8_f32 v48, v48, v49                             // 00000000486C: D2A20030 00026330
	v_cvt_pk_fp8_f32 v48, v50, v51 op_sel:[0,0,1]              // 000000004874: D2A24030 00026732
	v_rcp_f32_e32 v76, v76                                     // 00000000487C: 7E98454C
	v_mov_b32_e32 v77, 0x358637bd                              // 000000004880: 7E9A02FF 358637BD
	v_max3_f32 v77, |v52|, |v53|, v77                          // 000000004888: D1D3034D 05366B34
	v_max3_f32 v77, |v54|, |v55|, v77                          // 000000004890: D1D3034D 05366F36
	v_max3_f32 v77, |v56|, |v57|, v77                          // 000000004898: D1D3034D 05367338
	v_max3_f32 v77, |v58|, |v59|, v77                          // 0000000048A0: D1D3034D 0536773A
	ds_write_b32 v80, v77                                      // 0000000048A8: D81A0000 00004D50
	s_waitcnt lgkmcnt(0)                                       // 0000000048B0: BF8CC07F
	s_barrier                                                  // 0000000048B4: BF8A0000
	ds_read_b32 v4, v81                                        // 0000000048B8: D86C0000 04000051
	ds_read_b32 v5, v81 offset:64                              // 0000000048C0: D86C0040 05000051
	ds_read_b32 v6, v81 offset:128                             // 0000000048C8: D86C0080 06000051
	ds_read_b32 v7, v81 offset:192                             // 0000000048D0: D86C00C0 07000051
	ds_read_b32 v8, v81 offset:256                             // 0000000048D8: D86C0100 08000051
	ds_read_b32 v9, v81 offset:320                             // 0000000048E0: D86C0140 09000051
	ds_read_b32 v10, v81 offset:384                            // 0000000048E8: D86C0180 0A000051
	ds_read_b32 v11, v81 offset:448                            // 0000000048F0: D86C01C0 0B000051
	ds_read_b32 v12, v81 offset:512                            // 0000000048F8: D86C0200 0C000051
	ds_read_b32 v13, v81 offset:576                            // 000000004900: D86C0240 0D000051
	ds_read_b32 v14, v81 offset:640                            // 000000004908: D86C0280 0E000051
	ds_read_b32 v15, v81 offset:704                            // 000000004910: D86C02C0 0F000051
	ds_read_b32 v16, v81 offset:768                            // 000000004918: D86C0300 10000051
	ds_read_b32 v17, v81 offset:832                            // 000000004920: D86C0340 11000051
	ds_read_b32 v18, v81 offset:896                            // 000000004928: D86C0380 12000051
	ds_read_b32 v19, v81 offset:960                            // 000000004930: D86C03C0 13000051
	s_waitcnt lgkmcnt(0)                                       // 000000004938: BF8CC07F
	s_barrier                                                  // 00000000493C: BF8A0000
	v_max3_f32 v77, |v4|, |v5|, v77                            // 000000004940: D1D3034D 05360B04
	v_max3_f32 v77, |v6|, |v7|, v77                            // 000000004948: D1D3034D 05360F06
	v_max3_f32 v77, |v8|, |v9|, v77                            // 000000004950: D1D3034D 05361308
	v_max3_f32 v77, |v10|, |v11|, v77                          // 000000004958: D1D3034D 0536170A
	v_max3_f32 v77, |v12|, |v13|, v77                          // 000000004960: D1D3034D 05361B0C
	v_max3_f32 v77, |v14|, |v15|, v77                          // 000000004968: D1D3034D 05361F0E
	v_max3_f32 v77, |v16|, |v17|, v77                          // 000000004970: D1D3034D 05362310
	v_max3_f32 v77, |v18|, |v19|, v77                          // 000000004978: D1D3034D 05362712
	v_rcp_f32_e32 v77, v77                                     // 000000004980: 7E9A454D
	v_mov_b32_e32 v4, 0x43700000                               // 000000004984: 7E0802FF 43700000
	v_mul_f32_e32 v77, v4, v77                                 // 00000000498C: 0A9A9B04
	v_mov_b32_e32 v4, v77                                      // 000000004990: 7E08034D
	v_mov_b32_e32 v5, v4                                       // 000000004994: 7E0A0304
	v_pk_mul_f32 v[52:53], v[4:5], v[52:53]                    // 000000004998: D3B14034 18026904
	v_pk_mul_f32 v[54:55], v[4:5], v[54:55]                    // 0000000049A0: D3B14036 18026D04
	v_cvt_pk_fp8_f32 v52, v52, v53                             // 0000000049A8: D2A20034 00026B34
	v_cvt_pk_fp8_f32 v52, v54, v55 op_sel:[0,0,1]              // 0000000049B0: D2A24034 00026F36
	v_pk_mul_f32 v[56:57], v[4:5], v[56:57]                    // 0000000049B8: D3B14038 18027104
	v_pk_mul_f32 v[58:59], v[4:5], v[58:59]                    // 0000000049C0: D3B1403A 18027504
	v_cvt_pk_fp8_f32 v56, v56, v57                             // 0000000049C8: D2A20038 00027338
	v_cvt_pk_fp8_f32 v56, v58, v59 op_sel:[0,0,1]              // 0000000049D0: D2A24038 0002773A
	v_rcp_f32_e32 v77, v77                                     // 0000000049D8: 7E9A454D
	v_mov_b32_e32 v78, 0x358637bd                              // 0000000049DC: 7E9C02FF 358637BD
	v_max3_f32 v78, |v60|, |v61|, v78                          // 0000000049E4: D1D3034E 053A7B3C
	v_max3_f32 v78, |v62|, |v63|, v78                          // 0000000049EC: D1D3034E 053A7F3E
	v_max3_f32 v78, |v64|, |v65|, v78                          // 0000000049F4: D1D3034E 053A8340
	v_max3_f32 v78, |v66|, |v67|, v78                          // 0000000049FC: D1D3034E 053A8742
	ds_write_b32 v80, v78                                      // 000000004A04: D81A0000 00004E50
	s_waitcnt lgkmcnt(0)                                       // 000000004A0C: BF8CC07F
	s_barrier                                                  // 000000004A10: BF8A0000
	ds_read_b32 v4, v81                                        // 000000004A14: D86C0000 04000051
	ds_read_b32 v5, v81 offset:64                              // 000000004A1C: D86C0040 05000051
	ds_read_b32 v6, v81 offset:128                             // 000000004A24: D86C0080 06000051
	ds_read_b32 v7, v81 offset:192                             // 000000004A2C: D86C00C0 07000051
	ds_read_b32 v8, v81 offset:256                             // 000000004A34: D86C0100 08000051
	ds_read_b32 v9, v81 offset:320                             // 000000004A3C: D86C0140 09000051
	ds_read_b32 v10, v81 offset:384                            // 000000004A44: D86C0180 0A000051
	ds_read_b32 v11, v81 offset:448                            // 000000004A4C: D86C01C0 0B000051
	ds_read_b32 v12, v81 offset:512                            // 000000004A54: D86C0200 0C000051
	ds_read_b32 v13, v81 offset:576                            // 000000004A5C: D86C0240 0D000051
	ds_read_b32 v14, v81 offset:640                            // 000000004A64: D86C0280 0E000051
	ds_read_b32 v15, v81 offset:704                            // 000000004A6C: D86C02C0 0F000051
	ds_read_b32 v16, v81 offset:768                            // 000000004A74: D86C0300 10000051
	ds_read_b32 v17, v81 offset:832                            // 000000004A7C: D86C0340 11000051
	ds_read_b32 v18, v81 offset:896                            // 000000004A84: D86C0380 12000051
	ds_read_b32 v19, v81 offset:960                            // 000000004A8C: D86C03C0 13000051
	s_waitcnt lgkmcnt(0)                                       // 000000004A94: BF8CC07F
	s_barrier                                                  // 000000004A98: BF8A0000
	v_max3_f32 v78, |v4|, |v5|, v78                            // 000000004A9C: D1D3034E 053A0B04
	v_max3_f32 v78, |v6|, |v7|, v78                            // 000000004AA4: D1D3034E 053A0F06
	v_max3_f32 v78, |v8|, |v9|, v78                            // 000000004AAC: D1D3034E 053A1308
	v_max3_f32 v78, |v10|, |v11|, v78                          // 000000004AB4: D1D3034E 053A170A
	v_max3_f32 v78, |v12|, |v13|, v78                          // 000000004ABC: D1D3034E 053A1B0C
	v_max3_f32 v78, |v14|, |v15|, v78                          // 000000004AC4: D1D3034E 053A1F0E
	v_max3_f32 v78, |v16|, |v17|, v78                          // 000000004ACC: D1D3034E 053A2310
	v_max3_f32 v78, |v18|, |v19|, v78                          // 000000004AD4: D1D3034E 053A2712
	v_rcp_f32_e32 v78, v78                                     // 000000004ADC: 7E9C454E
	v_mov_b32_e32 v4, 0x43700000                               // 000000004AE0: 7E0802FF 43700000
	v_mul_f32_e32 v78, v4, v78                                 // 000000004AE8: 0A9C9D04
	v_mov_b32_e32 v4, v78                                      // 000000004AEC: 7E08034E
	v_mov_b32_e32 v5, v4                                       // 000000004AF0: 7E0A0304
	v_pk_mul_f32 v[60:61], v[4:5], v[60:61]                    // 000000004AF4: D3B1403C 18027904
	v_pk_mul_f32 v[62:63], v[4:5], v[62:63]                    // 000000004AFC: D3B1403E 18027D04
	v_cvt_pk_fp8_f32 v60, v60, v61                             // 000000004B04: D2A2003C 00027B3C
	v_cvt_pk_fp8_f32 v60, v62, v63 op_sel:[0,0,1]              // 000000004B0C: D2A2403C 00027F3E
	v_pk_mul_f32 v[64:65], v[4:5], v[64:65]                    // 000000004B14: D3B14040 18028104
	v_pk_mul_f32 v[66:67], v[4:5], v[66:67]                    // 000000004B1C: D3B14042 18028504
	v_cvt_pk_fp8_f32 v64, v64, v65                             // 000000004B24: D2A20040 00028340
	v_cvt_pk_fp8_f32 v64, v66, v67 op_sel:[0,0,1]              // 000000004B2C: D2A24040 00028742
	v_rcp_f32_e32 v78, v78                                     // 000000004B34: 7E9C454E
	v_mov_b32_e32 v79, 0x358637bd                              // 000000004B38: 7E9E02FF 358637BD
	v_max3_f32 v79, |v68|, |v69|, v79                          // 000000004B40: D1D3034F 053E8B44
	v_max3_f32 v79, |v70|, |v71|, v79                          // 000000004B48: D1D3034F 053E8F46
	v_max3_f32 v79, |v72|, |v73|, v79                          // 000000004B50: D1D3034F 053E9348
	v_max3_f32 v79, |v74|, |v75|, v79                          // 000000004B58: D1D3034F 053E974A
	ds_write_b32 v80, v79                                      // 000000004B60: D81A0000 00004F50
	s_waitcnt lgkmcnt(0)                                       // 000000004B68: BF8CC07F
	s_barrier                                                  // 000000004B6C: BF8A0000
	ds_read_b32 v4, v81                                        // 000000004B70: D86C0000 04000051
	ds_read_b32 v5, v81 offset:64                              // 000000004B78: D86C0040 05000051
	ds_read_b32 v6, v81 offset:128                             // 000000004B80: D86C0080 06000051
	ds_read_b32 v7, v81 offset:192                             // 000000004B88: D86C00C0 07000051
	ds_read_b32 v8, v81 offset:256                             // 000000004B90: D86C0100 08000051
	ds_read_b32 v9, v81 offset:320                             // 000000004B98: D86C0140 09000051
	ds_read_b32 v10, v81 offset:384                            // 000000004BA0: D86C0180 0A000051
	ds_read_b32 v11, v81 offset:448                            // 000000004BA8: D86C01C0 0B000051
	ds_read_b32 v12, v81 offset:512                            // 000000004BB0: D86C0200 0C000051
	ds_read_b32 v13, v81 offset:576                            // 000000004BB8: D86C0240 0D000051
	ds_read_b32 v14, v81 offset:640                            // 000000004BC0: D86C0280 0E000051
	ds_read_b32 v15, v81 offset:704                            // 000000004BC8: D86C02C0 0F000051
	ds_read_b32 v16, v81 offset:768                            // 000000004BD0: D86C0300 10000051
	ds_read_b32 v17, v81 offset:832                            // 000000004BD8: D86C0340 11000051
	ds_read_b32 v18, v81 offset:896                            // 000000004BE0: D86C0380 12000051
	ds_read_b32 v19, v81 offset:960                            // 000000004BE8: D86C03C0 13000051
	s_waitcnt lgkmcnt(0)                                       // 000000004BF0: BF8CC07F
	s_barrier                                                  // 000000004BF4: BF8A0000
	v_max3_f32 v79, |v4|, |v5|, v79                            // 000000004BF8: D1D3034F 053E0B04
	v_max3_f32 v79, |v6|, |v7|, v79                            // 000000004C00: D1D3034F 053E0F06
	v_max3_f32 v79, |v8|, |v9|, v79                            // 000000004C08: D1D3034F 053E1308
	v_max3_f32 v79, |v10|, |v11|, v79                          // 000000004C10: D1D3034F 053E170A
	v_max3_f32 v79, |v12|, |v13|, v79                          // 000000004C18: D1D3034F 053E1B0C
	v_max3_f32 v79, |v14|, |v15|, v79                          // 000000004C20: D1D3034F 053E1F0E
	v_max3_f32 v79, |v16|, |v17|, v79                          // 000000004C28: D1D3034F 053E2310
	v_max3_f32 v79, |v18|, |v19|, v79                          // 000000004C30: D1D3034F 053E2712
	v_rcp_f32_e32 v79, v79                                     // 000000004C38: 7E9E454F
	v_mov_b32_e32 v4, 0x43700000                               // 000000004C3C: 7E0802FF 43700000
	v_mul_f32_e32 v79, v4, v79                                 // 000000004C44: 0A9E9F04
	v_mov_b32_e32 v4, v79                                      // 000000004C48: 7E08034F
	v_mov_b32_e32 v5, v4                                       // 000000004C4C: 7E0A0304
	v_pk_mul_f32 v[68:69], v[4:5], v[68:69]                    // 000000004C50: D3B14044 18028904
	v_pk_mul_f32 v[70:71], v[4:5], v[70:71]                    // 000000004C58: D3B14046 18028D04
	v_cvt_pk_fp8_f32 v68, v68, v69                             // 000000004C60: D2A20044 00028B44
	v_cvt_pk_fp8_f32 v68, v70, v71 op_sel:[0,0,1]              // 000000004C68: D2A24044 00028F46
	v_pk_mul_f32 v[72:73], v[4:5], v[72:73]                    // 000000004C70: D3B14048 18029104
	v_pk_mul_f32 v[74:75], v[4:5], v[74:75]                    // 000000004C78: D3B1404A 18029504
	v_cvt_pk_fp8_f32 v72, v72, v73                             // 000000004C80: D2A20048 00029348
	v_cvt_pk_fp8_f32 v72, v74, v75 op_sel:[0,0,1]              // 000000004C88: D2A24048 0002974A
	v_rcp_f32_e32 v79, v79                                     // 000000004C90: 7E9E454F
	v_lshrrev_b32_e32 v4, 5, v0                                // 000000004C94: 20080085
	v_mul_lo_u32 v20, 34, v4                                   // 000000004C98: D2850014 000208A2
	v_and_b32_e32 v4, 31, v0                                   // 000000004CA0: 2608009F
	v_lshrrev_b32_e32 v5, 4, v4                                // 000000004CA4: 200A0884
	v_add_u32_e32 v20, v5, v20                                 // 000000004CA8: 68282905
	v_and_b32_e32 v4, 15, v0                                   // 000000004CAC: 2608008F
	v_mul_lo_u32 v5, 2, v4                                     // 000000004CB0: D2850005 00020882
	v_add_u32_e32 v20, v5, v20                                 // 000000004CB8: 68282905
	s_mul_i32 s60, s7, 0x44                                    // 000000004CBC: 923CFF07 00000044
	v_add_u32_e32 v20, s60, v20                                // 000000004CC4: 6828283C
	v_lshlrev_b32_e32 v20, 2, v20                              // 000000004CC8: 24282882
	ds_write_b32 v20, v44                                      // 000000004CCC: D81A0000 00002C14
	ds_write_b32 v20, v48 offset:1088                          // 000000004CD4: D81A0440 00003014
	ds_write_b32 v20, v52 offset:2176                          // 000000004CDC: D81A0880 00003414
	ds_write_b32 v20, v56 offset:3264                          // 000000004CE4: D81A0CC0 00003814
	ds_write_b32 v20, v60 offset:4352                          // 000000004CEC: D81A1100 00003C14
	ds_write_b32 v20, v64 offset:5440                          // 000000004CF4: D81A1540 00004014
	ds_write_b32 v20, v68 offset:6528                          // 000000004CFC: D81A1980 00004414
	ds_write_b32 v20, v72 offset:7616                          // 000000004D04: D81A1DC0 00004814
	v_lshrrev_b32_e32 v4, 5, v0                                // 000000004D0C: 20080085
	v_xor_b32_e32 v5, 1, v4                                    // 000000004D10: 2A0A0881
	s_mul_i32 s60, s65, 1                                      // 000000004D14: 923C8141
	s_cmp_eq_u32 s88, 0                                        // 000000004D18: BF068058
	s_cselect_b32 s61, 1, 8                                    // 000000004D1C: 853D8881
	s_mul_i32 s60, s61, s60                                    // 000000004D20: 923C3C3D
	v_readlane_b32 s82, v3, 0                                  // 000000004D24: D2890052 00010103
	s_lshr_b32 s61, s82, 24                                    // 000000004D2C: 8F3D9852
	s_and_b32 s82, s82, 0xffffff                               // 000000004D30: 8652FF52 00FFFFFF
	s_mul_i32 s82, s82, s71                                    // 000000004D38: 92524752
	s_mul_i32 s61, s60, s61                                    // 000000004D3C: 923D3D3C
	s_add_u32 s82, s82, s61                                    // 000000004D40: 80523D52
	v_mul_lo_u32 v6, v5, s82                                   // 000000004D44: D2850006 0000A505
	v_readlane_b32 s82, v3, 1                                  // 000000004D4C: D2890052 00010303
	s_lshr_b32 s61, s82, 24                                    // 000000004D54: 8F3D9852
	s_and_b32 s82, s82, 0xffffff                               // 000000004D58: 8652FF52 00FFFFFF
	s_mul_i32 s82, s82, s71                                    // 000000004D60: 92524752
	s_mul_i32 s61, s60, s61                                    // 000000004D64: 923D3D3C
	s_add_u32 s82, s82, s61                                    // 000000004D68: 80523D52
	v_mul_lo_u32 v7, v4, s82                                   // 000000004D6C: D2850007 0000A504
	v_add_u32_e32 v32, v6, v7                                  // 000000004D74: 68400F06
	v_readlane_b32 s82, v3, 2                                  // 000000004D78: D2890052 00010503
	s_lshr_b32 s61, s82, 24                                    // 000000004D80: 8F3D9852
	s_and_b32 s82, s82, 0xffffff                               // 000000004D84: 8652FF52 00FFFFFF
	s_mul_i32 s82, s82, s71                                    // 000000004D8C: 92524752
	s_mul_i32 s61, s60, s61                                    // 000000004D90: 923D3D3C
	s_add_u32 s82, s82, s61                                    // 000000004D94: 80523D52
	v_mul_lo_u32 v6, v5, s82                                   // 000000004D98: D2850006 0000A505
	v_readlane_b32 s82, v3, 3                                  // 000000004DA0: D2890052 00010703
	s_lshr_b32 s61, s82, 24                                    // 000000004DA8: 8F3D9852
	s_and_b32 s82, s82, 0xffffff                               // 000000004DAC: 8652FF52 00FFFFFF
	s_mul_i32 s82, s82, s71                                    // 000000004DB4: 92524752
	s_mul_i32 s61, s60, s61                                    // 000000004DB8: 923D3D3C
	s_add_u32 s82, s82, s61                                    // 000000004DBC: 80523D52
	v_mul_lo_u32 v7, v4, s82                                   // 000000004DC0: D2850007 0000A504
	v_add_u32_e32 v33, v6, v7                                  // 000000004DC8: 68420F06
	v_and_b32_e32 v4, 31, v0                                   // 000000004DCC: 2608009F
	v_lshrrev_b32_e32 v4, 1, v4                                // 000000004DD0: 20080881
	s_cmp_eq_u32 s88, 0                                        // 000000004DD4: BF068058
	s_cselect_b32 s61, 2, 4                                    // 000000004DD8: 853D8482
	v_mul_lo_u32 v4, v4, s61                                   // 000000004DDC: D2850004 00007B04
	v_and_b32_e64 v5, v0, 1                                    // 000000004DE4: D1130005 00010300
	v_add_u32_e32 v4, v4, v5                                   // 000000004DEC: 68080B04
	v_lshlrev_b32_e32 v4, 2, v4                                // 000000004DF0: 24080882
	v_add_u32_e32 v32, v32, v4                                 // 000000004DF4: 68400920
	v_add_u32_e32 v33, v33, v4                                 // 000000004DF8: 68420921
	s_waitcnt lgkmcnt(0)                                       // 000000004DFC: BF8CC07F
	s_barrier                                                  // 000000004E00: BF8A0000
	ds_read_b32 v44, v21                                       // 000000004E04: D86C0000 2C000015
	ds_read_b32 v45, v21 offset:64                             // 000000004E0C: D86C0040 2D000015
	ds_read_b32 v46, v21 offset:2176                           // 000000004E14: D86C0880 2E000015
	ds_read_b32 v47, v21 offset:2240                           // 000000004E1C: D86C08C0 2F000015
	ds_read_b32 v48, v21 offset:4352                           // 000000004E24: D86C1100 30000015
	ds_read_b32 v49, v21 offset:4416                           // 000000004E2C: D86C1140 31000015
	ds_read_b32 v50, v21 offset:6528                           // 000000004E34: D86C1980 32000015
	ds_read_b32 v51, v21 offset:6592                           // 000000004E3C: D86C19C0 33000015
	s_waitcnt lgkmcnt(0)                                       // 000000004E44: BF8CC07F
	s_mov_b32 s36, -1                                          // 000000004E48: BEA400C1
	s_mov_b32 s37, -1                                          // 000000004E4C: BEA500C1
	v_mov_b32_e32 v7, 0                                        // 000000004E50: 7E0E0280
	s_or_b32 s9, s9, 0x40000                                   // 000000004E54: 8709FF09 00040000
	s_mov_b64 exec, s[36:37]                                   // 000000004E5C: BEFE0124
	v_mov_b32_e32 v6, v32                                      // 000000004E60: 7E0C0320
	s_mov_b64 s[60:61], 0                                      // 000000004E64: BEBC0180
	v_readlane_b32 s82, v3, 0                                  // 000000004E68: D2890052 00010103
	s_and_b32 s82, s82, 0xffffff                               // 000000004E70: 8652FF52 00FFFFFF
	s_cmp_lt_u32 s82, s66                                      // 000000004E78: BF0A4252
	s_cselect_b32 s20, s36, s60                                // 000000004E7C: 85143C24
	v_readlane_b32 s82, v3, 1                                  // 000000004E80: D2890052 00010303
	s_and_b32 s82, s82, 0xffffff                               // 000000004E88: 8652FF52 00FFFFFF
	s_cmp_lt_u32 s82, s66                                      // 000000004E90: BF0A4252
	s_cselect_b32 s21, s36, s60                                // 000000004E94: 85153C24
	s_mov_b64 exec, s[20:21]                                   // 000000004E98: BEFE0114
	buffer_store_dword v44, v6, s[8:11], 0 offen               // 000000004E9C: E0701000 80022C06
	buffer_store_dword v46, v6, s[8:11], 0 offen offset:128    // 000000004EA4: E0701080 80022E06
	buffer_store_dword v48, v6, s[8:11], 0 offen offset:256    // 000000004EAC: E0701100 80023006
	buffer_store_dword v50, v6, s[8:11], 0 offen offset:384    // 000000004EB4: E0701180 80023206
	s_mov_b64 exec, s[36:37]                                   // 000000004EBC: BEFE0124
	v_mov_b32_e32 v6, v33                                      // 000000004EC0: 7E0C0321
	s_mov_b64 s[60:61], 0                                      // 000000004EC4: BEBC0180
	v_readlane_b32 s82, v3, 2                                  // 000000004EC8: D2890052 00010503
	s_and_b32 s82, s82, 0xffffff                               // 000000004ED0: 8652FF52 00FFFFFF
	s_cmp_lt_u32 s82, s66                                      // 000000004ED8: BF0A4252
	s_cselect_b32 s20, s36, s60                                // 000000004EDC: 85143C24
	v_readlane_b32 s82, v3, 3                                  // 000000004EE0: D2890052 00010703
	s_and_b32 s82, s82, 0xffffff                               // 000000004EE8: 8652FF52 00FFFFFF
	s_cmp_lt_u32 s82, s66                                      // 000000004EF0: BF0A4252
	s_cselect_b32 s21, s36, s60                                // 000000004EF4: 85153C24
	s_mov_b64 exec, s[20:21]                                   // 000000004EF8: BEFE0114
	buffer_store_dword v45, v6, s[8:11], 0 offen               // 000000004EFC: E0701000 80022D06
	buffer_store_dword v47, v6, s[8:11], 0 offen offset:128    // 000000004F04: E0701080 80022F06
	buffer_store_dword v49, v6, s[8:11], 0 offen offset:256    // 000000004F0C: E0701100 80023106
	buffer_store_dword v51, v6, s[8:11], 0 offen offset:384    // 000000004F14: E0701180 80023306
	s_mov_b64 exec, s[36:37]                                   // 000000004F1C: BEFE0124
	s_cmp_eq_u32 s7, 0                                         // 000000004F20: BF068007
	s_cbranch_scc0 label_1531                                  // 000000004F24: BF840BE4
	s_waitcnt vmcnt(8)                                         // 000000004F28: BF8C0F78
	s_mov_b32 s8, s90                                          // 000000004F2C: BE88005A
	s_mov_b32 s9, s91                                          // 000000004F30: BE89005B
	s_mul_i32 s60, s66, s71                                    // 000000004F34: 923C4742
	s_add_u32 s8, s60, s8                                      // 000000004F38: 8008083C
	s_addc_u32 s9, 0, s9                                       // 000000004F3C: 82090980
	s_lshr_b32 s71, s71, 5                                     // 000000004F40: 8F478547
	s_mul_i32 s60, s66, s71                                    // 000000004F44: 923C4742
	s_mov_b32 s10, s60                                         // 000000004F48: BE8A003C
	s_lshr_b32 s61, s65, 5                                     // 000000004F4C: 8F3D8541
	s_mul_i32 s60, s2, 16                                      // 000000004F50: 923C9002
	v_lshrrev_b32_e32 v4, 24, v28                              // 000000004F54: 20083898
	v_mul_lo_u32 v4, s61, v4                                   // 000000004F58: D2850004 0002083D
	v_and_b32_e32 v28, 0xffffff, v28                           // 000000004F60: 263838FF 00FFFFFF
	v_mul_lo_u32 v28, s71, v28                                 // 000000004F68: D285001C 00023847
	v_add_u32_e32 v28, v4, v28                                 // 000000004F70: 68383904
	v_add_u32_e32 v28, s60, v28                                // 000000004F74: 6838383C
	s_mov_b64 exec, 0xffff                                     // 000000004F78: BEFE01FF 0000FFFF
	buffer_store_dword v76, v28, s[8:11], 0 offen              // 000000004F80: E0701000 80024C1C
	buffer_store_dword v77, v28, s[8:11], 0 offen offset:4     // 000000004F88: E0701004 80024D1C
	buffer_store_dword v78, v28, s[8:11], 0 offen offset:8     // 000000004F90: E0701008 80024E1C
	buffer_store_dword v79, v28, s[8:11], 0 offen offset:12    // 000000004F98: E070100C 80024F1C
	s_mov_b64 exec, s[36:37]                                   // 000000004FA0: BEFE0124
	s_branch label_1531                                        // 000000004FA4: BF820BC4

0000000000004fa8 <label_096A>:
	ds_write_b64 v20, v[44:45]                                 // 000000004FA8: D89A0000 00002C14
	ds_write_b64 v20, v[48:49] offset:2176                     // 000000004FB0: D89A0880 00003014
	ds_write_b64 v20, v[52:53] offset:4352                     // 000000004FB8: D89A1100 00003414
	ds_write_b64 v20, v[56:57] offset:6528                     // 000000004FC0: D89A1980 00003814
	ds_write_b64 v20, v[60:61] offset:8704                     // 000000004FC8: D89A2200 00003C14
	ds_write_b64 v20, v[64:65] offset:10880                    // 000000004FD0: D89A2A80 00004014
	ds_write_b64 v20, v[68:69] offset:13056                    // 000000004FD8: D89A3300 00004414
	ds_write_b64 v20, v[72:73] offset:15232                    // 000000004FE0: D89A3B80 00004814
	v_lshrrev_b32_e32 v4, 5, v0                                // 000000004FE8: 20080085
	v_xor_b32_e32 v5, 1, v4                                    // 000000004FEC: 2A0A0881
	s_mul_i32 s60, s65, 1                                      // 000000004FF0: 923C8141
	s_cmp_eq_u32 s88, 0                                        // 000000004FF4: BF068058
	s_cselect_b32 s61, 1, 8                                    // 000000004FF8: 853D8881
	s_mul_i32 s60, s61, s60                                    // 000000004FFC: 923C3C3D
	v_readlane_b32 s82, v3, 0                                  // 000000005000: D2890052 00010103
	s_lshr_b32 s61, s82, 24                                    // 000000005008: 8F3D9852
	s_and_b32 s82, s82, 0xffffff                               // 00000000500C: 8652FF52 00FFFFFF
	s_mul_i32 s82, s82, s71                                    // 000000005014: 92524752
	s_mul_i32 s61, s60, s61                                    // 000000005018: 923D3D3C
	s_add_u32 s82, s82, s61                                    // 00000000501C: 80523D52
	v_mul_lo_u32 v6, v5, s82                                   // 000000005020: D2850006 0000A505
	v_readlane_b32 s82, v3, 1                                  // 000000005028: D2890052 00010303
	s_lshr_b32 s61, s82, 24                                    // 000000005030: 8F3D9852
	s_and_b32 s82, s82, 0xffffff                               // 000000005034: 8652FF52 00FFFFFF
	s_mul_i32 s82, s82, s71                                    // 00000000503C: 92524752
	s_mul_i32 s61, s60, s61                                    // 000000005040: 923D3D3C
	s_add_u32 s82, s82, s61                                    // 000000005044: 80523D52
	v_mul_lo_u32 v7, v4, s82                                   // 000000005048: D2850007 0000A504
	v_add_u32_e32 v32, v6, v7                                  // 000000005050: 68400F06
	v_readlane_b32 s82, v3, 2                                  // 000000005054: D2890052 00010503
	s_lshr_b32 s61, s82, 24                                    // 00000000505C: 8F3D9852
	s_and_b32 s82, s82, 0xffffff                               // 000000005060: 8652FF52 00FFFFFF
	s_mul_i32 s82, s82, s71                                    // 000000005068: 92524752
	s_mul_i32 s61, s60, s61                                    // 00000000506C: 923D3D3C
	s_add_u32 s82, s82, s61                                    // 000000005070: 80523D52
	v_mul_lo_u32 v6, v5, s82                                   // 000000005074: D2850006 0000A505
	v_readlane_b32 s82, v3, 3                                  // 00000000507C: D2890052 00010703
	s_lshr_b32 s61, s82, 24                                    // 000000005084: 8F3D9852
	s_and_b32 s82, s82, 0xffffff                               // 000000005088: 8652FF52 00FFFFFF
	s_mul_i32 s82, s82, s71                                    // 000000005090: 92524752
	s_mul_i32 s61, s60, s61                                    // 000000005094: 923D3D3C
	s_add_u32 s82, s82, s61                                    // 000000005098: 80523D52
	v_mul_lo_u32 v7, v4, s82                                   // 00000000509C: D2850007 0000A504
	v_add_u32_e32 v33, v6, v7                                  // 0000000050A4: 68420F06
	v_and_b32_e32 v4, 31, v0                                   // 0000000050A8: 2608009F
	v_lshrrev_b32_e32 v4, 1, v4                                // 0000000050AC: 20080881
	s_cmp_eq_u32 s88, 0                                        // 0000000050B0: BF068058
	s_cselect_b32 s61, 2, 4                                    // 0000000050B4: 853D8482
	v_mul_lo_u32 v4, v4, s61                                   // 0000000050B8: D2850004 00007B04
	v_and_b32_e64 v5, v0, 1                                    // 0000000050C0: D1130005 00010300
	v_add_u32_e32 v4, v4, v5                                   // 0000000050C8: 68080B04
	v_lshlrev_b32_e32 v4, 2, v4                                // 0000000050CC: 24080882
	v_add_u32_e32 v32, v32, v4                                 // 0000000050D0: 68400920
	v_add_u32_e32 v33, v33, v4                                 // 0000000050D4: 68420921
	s_waitcnt lgkmcnt(0)                                       // 0000000050D8: BF8CC07F
	s_barrier                                                  // 0000000050DC: BF8A0000
	ds_read_b32 v44, v21                                       // 0000000050E0: D86C0000 2C000015
	ds_read_b32 v45, v21 offset:64                             // 0000000050E8: D86C0040 2D000015
	ds_read_b32 v48, v21 offset:2176                           // 0000000050F0: D86C0880 30000015
	ds_read_b32 v49, v21 offset:2240                           // 0000000050F8: D86C08C0 31000015
	ds_read_b32 v52, v21 offset:4352                           // 000000005100: D86C1100 34000015
	ds_read_b32 v53, v21 offset:4416                           // 000000005108: D86C1140 35000015
	ds_read_b32 v56, v21 offset:6528                           // 000000005110: D86C1980 38000015
	ds_read_b32 v57, v21 offset:6592                           // 000000005118: D86C19C0 39000015
	ds_read_b32 v60, v21 offset:8704                           // 000000005120: D86C2200 3C000015
	ds_read_b32 v61, v21 offset:8768                           // 000000005128: D86C2240 3D000015
	ds_read_b32 v64, v21 offset:10880                          // 000000005130: D86C2A80 40000015
	ds_read_b32 v65, v21 offset:10944                          // 000000005138: D86C2AC0 41000015
	ds_read_b32 v68, v21 offset:13056                          // 000000005140: D86C3300 44000015
	ds_read_b32 v69, v21 offset:13120                          // 000000005148: D86C3340 45000015
	ds_read_b32 v72, v21 offset:15232                          // 000000005150: D86C3B80 48000015
	ds_read_b32 v73, v21 offset:15296                          // 000000005158: D86C3BC0 49000015
	s_waitcnt lgkmcnt(0)                                       // 000000005160: BF8CC07F
	s_mov_b32 s36, -1                                          // 000000005164: BEA400C1
	s_mov_b32 s37, -1                                          // 000000005168: BEA500C1
	v_mov_b32_e32 v7, 0                                        // 00000000516C: 7E0E0280
	s_mov_b64 exec, s[36:37]                                   // 000000005170: BEFE0124
	v_mov_b32_e32 v6, v32                                      // 000000005174: 7E0C0320
	s_mov_b64 s[60:61], 0                                      // 000000005178: BEBC0180
	v_readlane_b32 s82, v3, 0                                  // 00000000517C: D2890052 00010103
	s_and_b32 s82, s82, 0xffffff                               // 000000005184: 8652FF52 00FFFFFF
	s_cmp_lt_u32 s82, s66                                      // 00000000518C: BF0A4252
	s_cselect_b32 s20, s36, s60                                // 000000005190: 85143C24
	v_readlane_b32 s82, v3, 1                                  // 000000005194: D2890052 00010303
	s_and_b32 s82, s82, 0xffffff                               // 00000000519C: 8652FF52 00FFFFFF
	s_cmp_lt_u32 s82, s66                                      // 0000000051A4: BF0A4252
	s_cselect_b32 s21, s36, s60                                // 0000000051A8: 85153C24
	s_mov_b64 exec, s[20:21]                                   // 0000000051AC: BEFE0114
	global_atomic_add_f32 v6, v44, s[8:9]                      // 0000000051B0: DD348000 00082C06
	global_atomic_add_f32 v6, v48, s[8:9] offset:256           // 0000000051B8: DD348100 00083006
	global_atomic_add_f32 v6, v52, s[8:9] offset:512           // 0000000051C0: DD348200 00083406
	global_atomic_add_f32 v6, v56, s[8:9] offset:768           // 0000000051C8: DD348300 00083806
	global_atomic_add_f32 v6, v60, s[8:9] offset:1024          // 0000000051D0: DD348400 00083C06
	global_atomic_add_f32 v6, v64, s[8:9] offset:1280          // 0000000051D8: DD348500 00084006
	global_atomic_add_f32 v6, v68, s[8:9] offset:1536          // 0000000051E0: DD348600 00084406
	global_atomic_add_f32 v6, v72, s[8:9] offset:1792          // 0000000051E8: DD348700 00084806
	s_mov_b64 exec, s[36:37]                                   // 0000000051F0: BEFE0124
	v_mov_b32_e32 v6, v33                                      // 0000000051F4: 7E0C0321
	s_mov_b64 s[60:61], 0                                      // 0000000051F8: BEBC0180
	v_readlane_b32 s82, v3, 2                                  // 0000000051FC: D2890052 00010503
	s_and_b32 s82, s82, 0xffffff                               // 000000005204: 8652FF52 00FFFFFF
	s_cmp_lt_u32 s82, s66                                      // 00000000520C: BF0A4252
	s_cselect_b32 s20, s36, s60                                // 000000005210: 85143C24
	v_readlane_b32 s82, v3, 3                                  // 000000005214: D2890052 00010703
	s_and_b32 s82, s82, 0xffffff                               // 00000000521C: 8652FF52 00FFFFFF
	s_cmp_lt_u32 s82, s66                                      // 000000005224: BF0A4252
	s_cselect_b32 s21, s36, s60                                // 000000005228: 85153C24
	s_mov_b64 exec, s[20:21]                                   // 00000000522C: BEFE0114
	global_atomic_add_f32 v6, v45, s[8:9]                      // 000000005230: DD348000 00082D06
	global_atomic_add_f32 v6, v49, s[8:9] offset:256           // 000000005238: DD348100 00083106
	global_atomic_add_f32 v6, v53, s[8:9] offset:512           // 000000005240: DD348200 00083506
	global_atomic_add_f32 v6, v57, s[8:9] offset:768           // 000000005248: DD348300 00083906
	global_atomic_add_f32 v6, v61, s[8:9] offset:1024          // 000000005250: DD348400 00083D06
	global_atomic_add_f32 v6, v65, s[8:9] offset:1280          // 000000005258: DD348500 00084106
	global_atomic_add_f32 v6, v69, s[8:9] offset:1536          // 000000005260: DD348600 00084506
	global_atomic_add_f32 v6, v73, s[8:9] offset:1792          // 000000005268: DD348700 00084906
	s_mov_b64 exec, s[36:37]                                   // 000000005270: BEFE0124
	ds_write_b64 v20, v[46:47]                                 // 000000005274: D89A0000 00002E14
	ds_write_b64 v20, v[50:51] offset:2176                     // 00000000527C: D89A0880 00003214
	ds_write_b64 v20, v[54:55] offset:4352                     // 000000005284: D89A1100 00003614
	ds_write_b64 v20, v[58:59] offset:6528                     // 00000000528C: D89A1980 00003A14
	ds_write_b64 v20, v[62:63] offset:8704                     // 000000005294: D89A2200 00003E14
	ds_write_b64 v20, v[66:67] offset:10880                    // 00000000529C: D89A2A80 00004214
	ds_write_b64 v20, v[70:71] offset:13056                    // 0000000052A4: D89A3300 00004614
	ds_write_b64 v20, v[74:75] offset:15232                    // 0000000052AC: D89A3B80 00004A14
	s_waitcnt lgkmcnt(0)                                       // 0000000052B4: BF8CC07F
	s_barrier                                                  // 0000000052B8: BF8A0000
	ds_read_b32 v46, v21                                       // 0000000052BC: D86C0000 2E000015
	ds_read_b32 v47, v21 offset:64                             // 0000000052C4: D86C0040 2F000015
	ds_read_b32 v50, v21 offset:2176                           // 0000000052CC: D86C0880 32000015
	ds_read_b32 v51, v21 offset:2240                           // 0000000052D4: D86C08C0 33000015
	ds_read_b32 v54, v21 offset:4352                           // 0000000052DC: D86C1100 36000015
	ds_read_b32 v55, v21 offset:4416                           // 0000000052E4: D86C1140 37000015
	ds_read_b32 v58, v21 offset:6528                           // 0000000052EC: D86C1980 3A000015
	ds_read_b32 v59, v21 offset:6592                           // 0000000052F4: D86C19C0 3B000015
	ds_read_b32 v62, v21 offset:8704                           // 0000000052FC: D86C2200 3E000015
	ds_read_b32 v63, v21 offset:8768                           // 000000005304: D86C2240 3F000015
	ds_read_b32 v66, v21 offset:10880                          // 00000000530C: D86C2A80 42000015
	ds_read_b32 v67, v21 offset:10944                          // 000000005314: D86C2AC0 43000015
	ds_read_b32 v70, v21 offset:13056                          // 00000000531C: D86C3300 46000015
	ds_read_b32 v71, v21 offset:13120                          // 000000005324: D86C3340 47000015
	ds_read_b32 v74, v21 offset:15232                          // 00000000532C: D86C3B80 4A000015
	ds_read_b32 v75, v21 offset:15296                          // 000000005334: D86C3BC0 4B000015
	s_waitcnt lgkmcnt(0)                                       // 00000000533C: BF8CC07F
	v_mov_b32_e32 v7, 0                                        // 000000005340: 7E0E0280
	s_mov_b64 exec, s[36:37]                                   // 000000005344: BEFE0124
	v_mov_b32_e32 v6, v32                                      // 000000005348: 7E0C0320
	s_mov_b64 s[60:61], 0                                      // 00000000534C: BEBC0180
	v_readlane_b32 s82, v3, 0                                  // 000000005350: D2890052 00010103
	s_and_b32 s82, s82, 0xffffff                               // 000000005358: 8652FF52 00FFFFFF
	s_cmp_lt_u32 s82, s66                                      // 000000005360: BF0A4252
	s_cselect_b32 s20, s36, s60                                // 000000005364: 85143C24
	v_readlane_b32 s82, v3, 1                                  // 000000005368: D2890052 00010303
	s_and_b32 s82, s82, 0xffffff                               // 000000005370: 8652FF52 00FFFFFF
	s_cmp_lt_u32 s82, s66                                      // 000000005378: BF0A4252
	s_cselect_b32 s21, s36, s60                                // 00000000537C: 85153C24
	s_mov_b64 exec, s[20:21]                                   // 000000005380: BEFE0114
	global_atomic_add_f32 v6, v46, s[8:9] offset:8             // 000000005384: DD348008 00082E06
	global_atomic_add_f32 v6, v50, s[8:9] offset:264           // 00000000538C: DD348108 00083206
	global_atomic_add_f32 v6, v54, s[8:9] offset:520           // 000000005394: DD348208 00083606
	global_atomic_add_f32 v6, v58, s[8:9] offset:776           // 00000000539C: DD348308 00083A06
	global_atomic_add_f32 v6, v62, s[8:9] offset:1032          // 0000000053A4: DD348408 00083E06
	global_atomic_add_f32 v6, v66, s[8:9] offset:1288          // 0000000053AC: DD348508 00084206
	global_atomic_add_f32 v6, v70, s[8:9] offset:1544          // 0000000053B4: DD348608 00084606
	global_atomic_add_f32 v6, v74, s[8:9] offset:1800          // 0000000053BC: DD348708 00084A06
	s_mov_b64 exec, s[36:37]                                   // 0000000053C4: BEFE0124
	v_mov_b32_e32 v6, v33                                      // 0000000053C8: 7E0C0321
	s_mov_b64 s[60:61], 0                                      // 0000000053CC: BEBC0180
	v_readlane_b32 s82, v3, 2                                  // 0000000053D0: D2890052 00010503
	s_and_b32 s82, s82, 0xffffff                               // 0000000053D8: 8652FF52 00FFFFFF
	s_cmp_lt_u32 s82, s66                                      // 0000000053E0: BF0A4252
	s_cselect_b32 s20, s36, s60                                // 0000000053E4: 85143C24
	v_readlane_b32 s82, v3, 3                                  // 0000000053E8: D2890052 00010703
	s_and_b32 s82, s82, 0xffffff                               // 0000000053F0: 8652FF52 00FFFFFF
	s_cmp_lt_u32 s82, s66                                      // 0000000053F8: BF0A4252
	s_cselect_b32 s21, s36, s60                                // 0000000053FC: 85153C24
	s_mov_b64 exec, s[20:21]                                   // 000000005400: BEFE0114
	global_atomic_add_f32 v6, v47, s[8:9] offset:8             // 000000005404: DD348008 00082F06
	global_atomic_add_f32 v6, v51, s[8:9] offset:264           // 00000000540C: DD348108 00083306
	global_atomic_add_f32 v6, v55, s[8:9] offset:520           // 000000005414: DD348208 00083706
	global_atomic_add_f32 v6, v59, s[8:9] offset:776           // 00000000541C: DD348308 00083B06
	global_atomic_add_f32 v6, v63, s[8:9] offset:1032          // 000000005424: DD348408 00083F06
	global_atomic_add_f32 v6, v67, s[8:9] offset:1288          // 00000000542C: DD348508 00084306
	global_atomic_add_f32 v6, v71, s[8:9] offset:1544          // 000000005434: DD348608 00084706
	global_atomic_add_f32 v6, v75, s[8:9] offset:1800          // 00000000543C: DD348708 00084B06
	s_mov_b64 exec, s[36:37]                                   // 000000005444: BEFE0124
	ds_write_b64 v20, v[76:77]                                 // 000000005448: D89A0000 00004C14
	ds_write_b64 v20, v[80:81] offset:2176                     // 000000005450: D89A0880 00005014
	ds_write_b64 v20, v[84:85] offset:4352                     // 000000005458: D89A1100 00005414
	ds_write_b64 v20, v[88:89] offset:6528                     // 000000005460: D89A1980 00005814
	ds_write_b64 v20, v[92:93] offset:8704                     // 000000005468: D89A2200 00005C14
	ds_write_b64 v20, v[96:97] offset:10880                    // 000000005470: D89A2A80 00006014
	ds_write_b64 v20, v[100:101] offset:13056                  // 000000005478: D89A3300 00006414
	ds_write_b64 v20, v[104:105] offset:15232                  // 000000005480: D89A3B80 00006814
	s_waitcnt lgkmcnt(0)                                       // 000000005488: BF8CC07F
	s_barrier                                                  // 00000000548C: BF8A0000
	ds_read_b32 v76, v21                                       // 000000005490: D86C0000 4C000015
	ds_read_b32 v77, v21 offset:64                             // 000000005498: D86C0040 4D000015
	ds_read_b32 v80, v21 offset:2176                           // 0000000054A0: D86C0880 50000015
	ds_read_b32 v81, v21 offset:2240                           // 0000000054A8: D86C08C0 51000015
	ds_read_b32 v84, v21 offset:4352                           // 0000000054B0: D86C1100 54000015
	ds_read_b32 v85, v21 offset:4416                           // 0000000054B8: D86C1140 55000015
	ds_read_b32 v88, v21 offset:6528                           // 0000000054C0: D86C1980 58000015
	ds_read_b32 v89, v21 offset:6592                           // 0000000054C8: D86C19C0 59000015
	ds_read_b32 v92, v21 offset:8704                           // 0000000054D0: D86C2200 5C000015
	ds_read_b32 v93, v21 offset:8768                           // 0000000054D8: D86C2240 5D000015
	ds_read_b32 v96, v21 offset:10880                          // 0000000054E0: D86C2A80 60000015
	ds_read_b32 v97, v21 offset:10944                          // 0000000054E8: D86C2AC0 61000015
	ds_read_b32 v100, v21 offset:13056                         // 0000000054F0: D86C3300 64000015
	ds_read_b32 v101, v21 offset:13120                         // 0000000054F8: D86C3340 65000015
	ds_read_b32 v104, v21 offset:15232                         // 000000005500: D86C3B80 68000015
	ds_read_b32 v105, v21 offset:15296                         // 000000005508: D86C3BC0 69000015
	s_mul_i32 s60, s65, 4                                      // 000000005510: 923C8441
	s_add_u32 s8, s60, s8                                      // 000000005514: 8008083C
	s_addc_u32 s9, 0, s9                                       // 000000005518: 82090980
	s_waitcnt lgkmcnt(0)                                       // 00000000551C: BF8CC07F
	v_mov_b32_e32 v7, 0                                        // 000000005520: 7E0E0280
	s_mov_b64 exec, s[36:37]                                   // 000000005524: BEFE0124
	v_mov_b32_e32 v6, v32                                      // 000000005528: 7E0C0320
	s_mov_b64 s[60:61], 0                                      // 00000000552C: BEBC0180
	v_readlane_b32 s82, v3, 0                                  // 000000005530: D2890052 00010103
	s_and_b32 s82, s82, 0xffffff                               // 000000005538: 8652FF52 00FFFFFF
	s_cmp_lt_u32 s82, s66                                      // 000000005540: BF0A4252
	s_cselect_b32 s20, s36, s60                                // 000000005544: 85143C24
	v_readlane_b32 s82, v3, 1                                  // 000000005548: D2890052 00010303
	s_and_b32 s82, s82, 0xffffff                               // 000000005550: 8652FF52 00FFFFFF
	s_cmp_lt_u32 s82, s66                                      // 000000005558: BF0A4252
	s_cselect_b32 s21, s36, s60                                // 00000000555C: 85153C24
	s_mov_b64 exec, s[20:21]                                   // 000000005560: BEFE0114
	global_atomic_add_f32 v6, v76, s[8:9]                      // 000000005564: DD348000 00084C06
	global_atomic_add_f32 v6, v80, s[8:9] offset:256           // 00000000556C: DD348100 00085006
	global_atomic_add_f32 v6, v84, s[8:9] offset:512           // 000000005574: DD348200 00085406
	global_atomic_add_f32 v6, v88, s[8:9] offset:768           // 00000000557C: DD348300 00085806
	global_atomic_add_f32 v6, v92, s[8:9] offset:1024          // 000000005584: DD348400 00085C06
	global_atomic_add_f32 v6, v96, s[8:9] offset:1280          // 00000000558C: DD348500 00086006
	global_atomic_add_f32 v6, v100, s[8:9] offset:1536         // 000000005594: DD348600 00086406
	global_atomic_add_f32 v6, v104, s[8:9] offset:1792         // 00000000559C: DD348700 00086806
	s_mov_b64 exec, s[36:37]                                   // 0000000055A4: BEFE0124
	v_mov_b32_e32 v6, v33                                      // 0000000055A8: 7E0C0321
	s_mov_b64 s[60:61], 0                                      // 0000000055AC: BEBC0180
	v_readlane_b32 s82, v3, 2                                  // 0000000055B0: D2890052 00010503
	s_and_b32 s82, s82, 0xffffff                               // 0000000055B8: 8652FF52 00FFFFFF
	s_cmp_lt_u32 s82, s66                                      // 0000000055C0: BF0A4252
	s_cselect_b32 s20, s36, s60                                // 0000000055C4: 85143C24
	v_readlane_b32 s82, v3, 3                                  // 0000000055C8: D2890052 00010703
	s_and_b32 s82, s82, 0xffffff                               // 0000000055D0: 8652FF52 00FFFFFF
	s_cmp_lt_u32 s82, s66                                      // 0000000055D8: BF0A4252
	s_cselect_b32 s21, s36, s60                                // 0000000055DC: 85153C24
	s_mov_b64 exec, s[20:21]                                   // 0000000055E0: BEFE0114
	global_atomic_add_f32 v6, v77, s[8:9]                      // 0000000055E4: DD348000 00084D06
	global_atomic_add_f32 v6, v81, s[8:9] offset:256           // 0000000055EC: DD348100 00085106
	global_atomic_add_f32 v6, v85, s[8:9] offset:512           // 0000000055F4: DD348200 00085506
	global_atomic_add_f32 v6, v89, s[8:9] offset:768           // 0000000055FC: DD348300 00085906
	global_atomic_add_f32 v6, v93, s[8:9] offset:1024          // 000000005604: DD348400 00085D06
	global_atomic_add_f32 v6, v97, s[8:9] offset:1280          // 00000000560C: DD348500 00086106
	global_atomic_add_f32 v6, v101, s[8:9] offset:1536         // 000000005614: DD348600 00086506
	global_atomic_add_f32 v6, v105, s[8:9] offset:1792         // 00000000561C: DD348700 00086906
	s_mov_b64 exec, s[36:37]                                   // 000000005624: BEFE0124
	ds_write_b64 v20, v[78:79]                                 // 000000005628: D89A0000 00004E14
	ds_write_b64 v20, v[82:83] offset:2176                     // 000000005630: D89A0880 00005214
	ds_write_b64 v20, v[86:87] offset:4352                     // 000000005638: D89A1100 00005614
	ds_write_b64 v20, v[90:91] offset:6528                     // 000000005640: D89A1980 00005A14
	ds_write_b64 v20, v[94:95] offset:8704                     // 000000005648: D89A2200 00005E14
	ds_write_b64 v20, v[98:99] offset:10880                    // 000000005650: D89A2A80 00006214
	ds_write_b64 v20, v[102:103] offset:13056                  // 000000005658: D89A3300 00006614
	ds_write_b64 v20, v[106:107] offset:15232                  // 000000005660: D89A3B80 00006A14
	s_waitcnt lgkmcnt(0)                                       // 000000005668: BF8CC07F
	s_barrier                                                  // 00000000566C: BF8A0000
	ds_read_b32 v78, v21                                       // 000000005670: D86C0000 4E000015
	ds_read_b32 v79, v21 offset:64                             // 000000005678: D86C0040 4F000015
	ds_read_b32 v82, v21 offset:2176                           // 000000005680: D86C0880 52000015
	ds_read_b32 v83, v21 offset:2240                           // 000000005688: D86C08C0 53000015
	ds_read_b32 v86, v21 offset:4352                           // 000000005690: D86C1100 56000015
	ds_read_b32 v87, v21 offset:4416                           // 000000005698: D86C1140 57000015
	ds_read_b32 v90, v21 offset:6528                           // 0000000056A0: D86C1980 5A000015
	ds_read_b32 v91, v21 offset:6592                           // 0000000056A8: D86C19C0 5B000015
	ds_read_b32 v94, v21 offset:8704                           // 0000000056B0: D86C2200 5E000015
	ds_read_b32 v95, v21 offset:8768                           // 0000000056B8: D86C2240 5F000015
	ds_read_b32 v98, v21 offset:10880                          // 0000000056C0: D86C2A80 62000015
	ds_read_b32 v99, v21 offset:10944                          // 0000000056C8: D86C2AC0 63000015
	ds_read_b32 v102, v21 offset:13056                         // 0000000056D0: D86C3300 66000015
	ds_read_b32 v103, v21 offset:13120                         // 0000000056D8: D86C3340 67000015
	ds_read_b32 v106, v21 offset:15232                         // 0000000056E0: D86C3B80 6A000015
	ds_read_b32 v107, v21 offset:15296                         // 0000000056E8: D86C3BC0 6B000015
	s_waitcnt lgkmcnt(0)                                       // 0000000056F0: BF8CC07F
	v_mov_b32_e32 v7, 0                                        // 0000000056F4: 7E0E0280
	s_mov_b64 exec, s[36:37]                                   // 0000000056F8: BEFE0124
	v_mov_b32_e32 v6, v32                                      // 0000000056FC: 7E0C0320
	s_mov_b64 s[60:61], 0                                      // 000000005700: BEBC0180
	v_readlane_b32 s82, v3, 0                                  // 000000005704: D2890052 00010103
	s_and_b32 s82, s82, 0xffffff                               // 00000000570C: 8652FF52 00FFFFFF
	s_cmp_lt_u32 s82, s66                                      // 000000005714: BF0A4252
	s_cselect_b32 s20, s36, s60                                // 000000005718: 85143C24
	v_readlane_b32 s82, v3, 1                                  // 00000000571C: D2890052 00010303
	s_and_b32 s82, s82, 0xffffff                               // 000000005724: 8652FF52 00FFFFFF
	s_cmp_lt_u32 s82, s66                                      // 00000000572C: BF0A4252
	s_cselect_b32 s21, s36, s60                                // 000000005730: 85153C24
	s_mov_b64 exec, s[20:21]                                   // 000000005734: BEFE0114
	global_atomic_add_f32 v6, v78, s[8:9] offset:8             // 000000005738: DD348008 00084E06
	global_atomic_add_f32 v6, v82, s[8:9] offset:264           // 000000005740: DD348108 00085206
	global_atomic_add_f32 v6, v86, s[8:9] offset:520           // 000000005748: DD348208 00085606
	global_atomic_add_f32 v6, v90, s[8:9] offset:776           // 000000005750: DD348308 00085A06
	global_atomic_add_f32 v6, v94, s[8:9] offset:1032          // 000000005758: DD348408 00085E06
	global_atomic_add_f32 v6, v98, s[8:9] offset:1288          // 000000005760: DD348508 00086206
	global_atomic_add_f32 v6, v102, s[8:9] offset:1544         // 000000005768: DD348608 00086606
	global_atomic_add_f32 v6, v106, s[8:9] offset:1800         // 000000005770: DD348708 00086A06
	s_mov_b64 exec, s[36:37]                                   // 000000005778: BEFE0124
	v_mov_b32_e32 v6, v33                                      // 00000000577C: 7E0C0321
	s_mov_b64 s[60:61], 0                                      // 000000005780: BEBC0180
	v_readlane_b32 s82, v3, 2                                  // 000000005784: D2890052 00010503
	s_and_b32 s82, s82, 0xffffff                               // 00000000578C: 8652FF52 00FFFFFF
	s_cmp_lt_u32 s82, s66                                      // 000000005794: BF0A4252
	s_cselect_b32 s20, s36, s60                                // 000000005798: 85143C24
	v_readlane_b32 s82, v3, 3                                  // 00000000579C: D2890052 00010703
	s_and_b32 s82, s82, 0xffffff                               // 0000000057A4: 8652FF52 00FFFFFF
	s_cmp_lt_u32 s82, s66                                      // 0000000057AC: BF0A4252
	s_cselect_b32 s21, s36, s60                                // 0000000057B0: 85153C24
	s_mov_b64 exec, s[20:21]                                   // 0000000057B4: BEFE0114
	global_atomic_add_f32 v6, v79, s[8:9] offset:8             // 0000000057B8: DD348008 00084F06
	global_atomic_add_f32 v6, v83, s[8:9] offset:264           // 0000000057C0: DD348108 00085306
	global_atomic_add_f32 v6, v87, s[8:9] offset:520           // 0000000057C8: DD348208 00085706
	global_atomic_add_f32 v6, v91, s[8:9] offset:776           // 0000000057D0: DD348308 00085B06
	global_atomic_add_f32 v6, v95, s[8:9] offset:1032          // 0000000057D8: DD348408 00085F06
	global_atomic_add_f32 v6, v99, s[8:9] offset:1288          // 0000000057E0: DD348508 00086306
	global_atomic_add_f32 v6, v103, s[8:9] offset:1544         // 0000000057E8: DD348608 00086706
	global_atomic_add_f32 v6, v107, s[8:9] offset:1800         // 0000000057F0: DD348708 00086B06
	s_mov_b64 exec, s[36:37]                                   // 0000000057F8: BEFE0124
	s_branch label_1531                                        // 0000000057FC: BF8209AE

0000000000005800 <label_0B83>:
	s_waitcnt vmcnt(14) lgkmcnt(0)                             // 000000005800: BF8C007E
	s_barrier                                                  // 000000005804: BF8A0000
	v_mov_b32_e32 v31, v29                                     // 000000005808: 7E3E031D
	v_mul_f32_dpp v4, v24, v31 row_newbcast:0 row_mask:0xf bank_mask:0xf// 00000000580C: 0A083EFA FF015018
	v_mfma_f32_16x16x32_fp8_fp8 v[8:11], a[16:17], a[0:1], 0   // 000000005814: D3F30008 1A020110
	buffer_load_dword v27, v23, s[32:35], 0 offen              // 00000000581C: E0501000 80081B17
	buffer_load_dwordx4 a[80:83], v34, s[84:87], 0 offen       // 000000005824: E05C1000 80955022
	v_mfma_f32_16x16x32_fp8_fp8 v[8:11], a[18:19], a[2:3], v[8:11]// 00000000582C: D3F30008 1C220512
	v_mfma_f32_16x16x32_fp8_fp8 v[8:11], a[20:21], a[4:5], v[8:11]// 000000005834: D3F30008 1C220914
	v_mfma_f32_16x16x32_fp8_fp8 v[8:11], a[22:23], a[6:7], v[8:11]// 00000000583C: D3F30008 1C220D16
	s_waitcnt vmcnt(14)                                        // 000000005844: BF8C0F7E
	v_mul_f32_dpp v6, v24, v31 row_newbcast:0 row_mask:0xf bank_mask:0xf// 000000005848: 0A0C3EFA FF015018
	v_mfma_f32_16x16x32_fp8_fp8 v[12:15], a[24:25], a[0:1], 0  // 000000005850: D3F3000C 1A020118
	buffer_load_dwordx4 a[84:87], v34, s[84:87], 0 offen offset:1024// 000000005858: E05C1400 80955422
	v_mfma_f32_16x16x32_fp8_fp8 v[12:15], a[26:27], a[2:3], v[12:15]// 000000005860: D3F3000C 1C32051A
	v_mfma_f32_16x16x32_fp8_fp8 v[12:15], a[28:29], a[4:5], v[12:15]// 000000005868: D3F3000C 1C32091C
	v_mfma_f32_16x16x32_fp8_fp8 v[12:15], a[30:31], a[6:7], v[12:15]// 000000005870: D3F3000C 1C320D1E
	v_fma_f32 v44, v8, v4, v44                                 // 000000005878: D1CB002C 04B20908
	v_fma_f32 v45, v9, v4, v45                                 // 000000005880: D1CB002D 04B60909
	v_fma_f32 v46, v10, v4, v46                                // 000000005888: D1CB002E 04BA090A
	v_fma_f32 v47, v11, v4, v47                                // 000000005890: D1CB002F 04BE090B
	s_waitcnt vmcnt(13)                                        // 000000005898: BF8C0F7D
	v_mul_f32_dpp v4, v24, v31 row_newbcast:1 row_mask:0xf bank_mask:0xf// 00000000589C: 0A083EFA FF015118
	v_mfma_f32_16x16x32_fp8_fp8 v[8:11], a[32:33], a[0:1], 0   // 0000000058A4: D3F30008 1A020120
	buffer_load_dwordx4 a[88:91], v35, s[84:87], 0 offen       // 0000000058AC: E05C1000 80955823
	v_mfma_f32_16x16x32_fp8_fp8 v[8:11], a[34:35], a[2:3], v[8:11]// 0000000058B4: D3F30008 1C220522
	v_mfma_f32_16x16x32_fp8_fp8 v[8:11], a[36:37], a[4:5], v[8:11]// 0000000058BC: D3F30008 1C220924
	v_mfma_f32_16x16x32_fp8_fp8 v[8:11], a[38:39], a[6:7], v[8:11]// 0000000058C4: D3F30008 1C220D26
	v_fma_f32 v48, v12, v6, v48                                // 0000000058CC: D1CB0030 04C20D0C
	v_fma_f32 v49, v13, v6, v49                                // 0000000058D4: D1CB0031 04C60D0D
	v_fma_f32 v50, v14, v6, v50                                // 0000000058DC: D1CB0032 04CA0D0E
	v_fma_f32 v51, v15, v6, v51                                // 0000000058E4: D1CB0033 04CE0D0F
	s_waitcnt vmcnt(12)                                        // 0000000058EC: BF8C0F7C
	v_mul_f32_dpp v6, v24, v31 row_newbcast:1 row_mask:0xf bank_mask:0xf// 0000000058F0: 0A0C3EFA FF015118
	v_mfma_f32_16x16x32_fp8_fp8 v[12:15], a[40:41], a[0:1], 0  // 0000000058F8: D3F3000C 1A020128
	buffer_load_dwordx4 a[92:95], v35, s[84:87], 0 offen offset:1024// 000000005900: E05C1400 80955C23
	v_mfma_f32_16x16x32_fp8_fp8 v[12:15], a[42:43], a[2:3], v[12:15]// 000000005908: D3F3000C 1C32052A
	v_mfma_f32_16x16x32_fp8_fp8 v[12:15], a[44:45], a[4:5], v[12:15]// 000000005910: D3F3000C 1C32092C
	v_mfma_f32_16x16x32_fp8_fp8 v[12:15], a[46:47], a[6:7], v[12:15]// 000000005918: D3F3000C 1C320D2E
	v_fma_f32 v52, v8, v4, v52                                 // 000000005920: D1CB0034 04D20908
	v_fma_f32 v53, v9, v4, v53                                 // 000000005928: D1CB0035 04D60909
	v_fma_f32 v54, v10, v4, v54                                // 000000005930: D1CB0036 04DA090A
	v_fma_f32 v55, v11, v4, v55                                // 000000005938: D1CB0037 04DE090B
	s_waitcnt vmcnt(11)                                        // 000000005940: BF8C0F7B
	v_mul_f32_dpp v4, v24, v31 row_newbcast:2 row_mask:0xf bank_mask:0xf// 000000005944: 0A083EFA FF015218
	v_mfma_f32_16x16x32_fp8_fp8 v[8:11], a[48:49], a[0:1], 0   // 00000000594C: D3F30008 1A020130
	buffer_load_dwordx4 a[96:99], v36, s[84:87], 0 offen       // 000000005954: E05C1000 80956024
	v_mfma_f32_16x16x32_fp8_fp8 v[8:11], a[50:51], a[2:3], v[8:11]// 00000000595C: D3F30008 1C220532
	v_mfma_f32_16x16x32_fp8_fp8 v[8:11], a[52:53], a[4:5], v[8:11]// 000000005964: D3F30008 1C220934
	v_mfma_f32_16x16x32_fp8_fp8 v[8:11], a[54:55], a[6:7], v[8:11]// 00000000596C: D3F30008 1C220D36
	v_fma_f32 v56, v12, v6, v56                                // 000000005974: D1CB0038 04E20D0C
	v_fma_f32 v57, v13, v6, v57                                // 00000000597C: D1CB0039 04E60D0D
	v_fma_f32 v58, v14, v6, v58                                // 000000005984: D1CB003A 04EA0D0E
	v_fma_f32 v59, v15, v6, v59                                // 00000000598C: D1CB003B 04EE0D0F
	s_waitcnt vmcnt(10)                                        // 000000005994: BF8C0F7A
	v_mul_f32_dpp v6, v24, v31 row_newbcast:2 row_mask:0xf bank_mask:0xf// 000000005998: 0A0C3EFA FF015218
	v_mfma_f32_16x16x32_fp8_fp8 v[12:15], a[56:57], a[0:1], 0  // 0000000059A0: D3F3000C 1A020138
	buffer_load_dwordx4 a[100:103], v36, s[84:87], 0 offen offset:1024// 0000000059A8: E05C1400 80956424
	v_mfma_f32_16x16x32_fp8_fp8 v[12:15], a[58:59], a[2:3], v[12:15]// 0000000059B0: D3F3000C 1C32053A
	v_mfma_f32_16x16x32_fp8_fp8 v[12:15], a[60:61], a[4:5], v[12:15]// 0000000059B8: D3F3000C 1C32093C
	v_mfma_f32_16x16x32_fp8_fp8 v[12:15], a[62:63], a[6:7], v[12:15]// 0000000059C0: D3F3000C 1C320D3E
	v_fma_f32 v60, v8, v4, v60                                 // 0000000059C8: D1CB003C 04F20908
	v_fma_f32 v61, v9, v4, v61                                 // 0000000059D0: D1CB003D 04F60909
	v_fma_f32 v62, v10, v4, v62                                // 0000000059D8: D1CB003E 04FA090A
	v_fma_f32 v63, v11, v4, v63                                // 0000000059E0: D1CB003F 04FE090B
	s_waitcnt vmcnt(9)                                         // 0000000059E8: BF8C0F79
	v_mul_f32_dpp v4, v24, v31 row_newbcast:3 row_mask:0xf bank_mask:0xf// 0000000059EC: 0A083EFA FF015318
	v_mfma_f32_16x16x32_fp8_fp8 v[8:11], a[64:65], a[0:1], 0   // 0000000059F4: D3F30008 1A020140
	buffer_load_dwordx4 a[104:107], v37, s[84:87], 0 offen     // 0000000059FC: E05C1000 80956825
	v_mfma_f32_16x16x32_fp8_fp8 v[8:11], a[66:67], a[2:3], v[8:11]// 000000005A04: D3F30008 1C220542
	v_mfma_f32_16x16x32_fp8_fp8 v[8:11], a[68:69], a[4:5], v[8:11]// 000000005A0C: D3F30008 1C220944
	v_mfma_f32_16x16x32_fp8_fp8 v[8:11], a[70:71], a[6:7], v[8:11]// 000000005A14: D3F30008 1C220D46
	v_fma_f32 v64, v12, v6, v64                                // 000000005A1C: D1CB0040 05020D0C
	v_fma_f32 v65, v13, v6, v65                                // 000000005A24: D1CB0041 05060D0D
	v_fma_f32 v66, v14, v6, v66                                // 000000005A2C: D1CB0042 050A0D0E
	v_fma_f32 v67, v15, v6, v67                                // 000000005A34: D1CB0043 050E0D0F
	s_waitcnt vmcnt(8)                                         // 000000005A3C: BF8C0F78
	v_mul_f32_dpp v6, v24, v31 row_newbcast:3 row_mask:0xf bank_mask:0xf// 000000005A40: 0A0C3EFA FF015318
	v_mfma_f32_16x16x32_fp8_fp8 v[12:15], a[72:73], a[0:1], 0  // 000000005A48: D3F3000C 1A020148
	buffer_load_dwordx4 a[108:111], v37, s[84:87], 0 offen offset:1024// 000000005A50: E05C1400 80956C25
	v_mfma_f32_16x16x32_fp8_fp8 v[12:15], a[74:75], a[2:3], v[12:15]// 000000005A58: D3F3000C 1C32054A
	s_add_u32 s60, 0x80, s80                                   // 000000005A60: 803C50FF 00000080
	s_cmp_lt_u32 s60, s81                                      // 000000005A68: BF0A513C
	s_cselect_b32 s83, s83, 0                                  // 000000005A6C: 85538053
	s_cselect_b32 s4, s4, 0                                    // 000000005A70: 85048004
	v_mfma_f32_16x16x32_fp8_fp8 v[12:15], a[76:77], a[4:5], v[12:15]// 000000005A74: D3F3000C 1C32094C
	s_add_u32 s32, s4, s32                                     // 000000005A7C: 80202004
	s_addc_u32 s33, 0, s33                                     // 000000005A80: 82212180
	v_mfma_f32_16x16x32_fp8_fp8 v[12:15], a[78:79], a[6:7], v[12:15]// 000000005A84: D3F3000C 1C320D4E
	v_fma_f32 v68, v8, v4, v68                                 // 000000005A8C: D1CB0044 05120908
	v_fma_f32 v69, v9, v4, v69                                 // 000000005A94: D1CB0045 05160909
	v_fma_f32 v70, v10, v4, v70                                // 000000005A9C: D1CB0046 051A090A
	v_fma_f32 v71, v11, v4, v71                                // 000000005AA4: D1CB0047 051E090B
	v_fma_f32 v72, v12, v6, v72                                // 000000005AAC: D1CB0048 05220D0C
	v_fma_f32 v73, v13, v6, v73                                // 000000005AB4: D1CB0049 05260D0D
	v_fma_f32 v74, v14, v6, v74                                // 000000005ABC: D1CB004A 052A0D0E
	v_fma_f32 v75, v15, v6, v75                                // 000000005AC4: D1CB004B 052E0D0F
	buffer_load_dwordx4 a[112:115], v38, s[84:87], 0 offen     // 000000005ACC: E05C1000 80957026
	buffer_load_dwordx4 a[116:119], v38, s[84:87], 0 offen offset:1024// 000000005AD4: E05C1400 80957426
	buffer_load_dwordx4 a[120:123], v39, s[84:87], 0 offen     // 000000005ADC: E05C1000 80957827
	buffer_load_dwordx4 a[124:127], v39, s[84:87], 0 offen offset:1024// 000000005AE4: E05C1400 80957C27
	buffer_load_dwordx4 a[128:131], v40, s[84:87], 0 offen     // 000000005AEC: E05C1000 80958028
	buffer_load_dwordx4 a[132:135], v40, s[84:87], 0 offen offset:1024// 000000005AF4: E05C1400 80958428
	buffer_load_dwordx4 a[136:139], v41, s[84:87], 0 offen     // 000000005AFC: E05C1000 80958829
	buffer_load_dwordx4 a[140:143], v41, s[84:87], 0 offen offset:1024// 000000005B04: E05C1400 80958C29
	buffer_load_dword v32, s[20:23], 0 offen lds               // 000000005B0C: E0511000 80050020
	s_add_u32 m0, 0x100, s48                                   // 000000005B14: 807C30FF 00000100
	buffer_load_dword v33, s[20:23], 0 offen lds               // 000000005B1C: E0511000 80050021
	s_add_u32 m0, 0, s49                                       // 000000005B24: 807C3180
	buffer_load_dword v29, v28, s[28:31], 0 offen              // 000000005B28: E0501000 80071D1C
	s_waitcnt vmcnt(3)                                         // 000000005B30: BF8C0F73
	v_mul_f32_dpp v4, v27, v31 row_newbcast:0 row_mask:0xf bank_mask:0xf// 000000005B34: 0A083EFA FF01501B
	v_mfma_f32_16x16x32_fp8_fp8 v[8:11], a[80:81], a[0:1], 0   // 000000005B3C: D3F30008 1A020150
	buffer_load_dword v24, v22, s[32:35], 0 offen              // 000000005B44: E0501000 80081816
	buffer_load_dwordx4 a[16:19], v34, s[24:27], 0 offen       // 000000005B4C: E05C1000 80861022
	v_mfma_f32_16x16x32_fp8_fp8 v[8:11], a[82:83], a[2:3], v[8:11]// 000000005B54: D3F30008 1C220552
	v_mfma_f32_16x16x32_fp8_fp8 v[8:11], a[84:85], a[4:5], v[8:11]// 000000005B5C: D3F30008 1C220954
	ds_read_b128 a[8:11], v2 offset:2176                       // 000000005B64: DBFE0880 08000002
	ds_read_b128 a[12:15], v2 offset:2240                      // 000000005B6C: DBFE08C0 0C000002
	v_mfma_f32_16x16x32_fp8_fp8 v[8:11], a[86:87], a[6:7], v[8:11]// 000000005B74: D3F30008 1C220D56
	v_mfma_f32_16x16x32_fp8_fp8 v[12:15], a[88:89], a[0:1], 0  // 000000005B7C: D3F3000C 1A020158
	buffer_load_dwordx4 a[20:23], v34, s[24:27], 0 offen offset:1024// 000000005B84: E05C1400 80861422
	v_mfma_f32_16x16x32_fp8_fp8 v[12:15], a[90:91], a[2:3], v[12:15]// 000000005B8C: D3F3000C 1C32055A
	v_mfma_f32_16x16x32_fp8_fp8 v[12:15], a[92:93], a[4:5], v[12:15]// 000000005B94: D3F3000C 1C32095C
	v_mfma_f32_16x16x32_fp8_fp8 v[12:15], a[94:95], a[6:7], v[12:15]// 000000005B9C: D3F3000C 1C320D5E
	v_fma_f32 v76, v8, v4, v76                                 // 000000005BA4: D1CB004C 05320908
	v_fma_f32 v77, v9, v4, v77                                 // 000000005BAC: D1CB004D 05360909
	v_fma_f32 v78, v10, v4, v78                                // 000000005BB4: D1CB004E 053A090A
	v_fma_f32 v79, v11, v4, v79                                // 000000005BBC: D1CB004F 053E090B
	v_mul_f32_dpp v6, v27, v31 row_newbcast:1 row_mask:0xf bank_mask:0xf// 000000005BC4: 0A0C3EFA FF01511B
	v_mfma_f32_16x16x32_fp8_fp8 v[8:11], a[96:97], a[0:1], 0   // 000000005BCC: D3F30008 1A020160
	buffer_load_dwordx4 a[24:27], v35, s[24:27], 0 offen       // 000000005BD4: E05C1000 80861823
	v_mfma_f32_16x16x32_fp8_fp8 v[8:11], a[98:99], a[2:3], v[8:11]// 000000005BDC: D3F30008 1C220562
	v_mfma_f32_16x16x32_fp8_fp8 v[8:11], a[100:101], a[4:5], v[8:11]// 000000005BE4: D3F30008 1C220964
	v_mfma_f32_16x16x32_fp8_fp8 v[8:11], a[102:103], a[6:7], v[8:11]// 000000005BEC: D3F30008 1C220D66
	v_fma_f32 v80, v12, v4, v80                                // 000000005BF4: D1CB0050 0542090C
	v_fma_f32 v81, v13, v4, v81                                // 000000005BFC: D1CB0051 0546090D
	v_fma_f32 v82, v14, v4, v82                                // 000000005C04: D1CB0052 054A090E
	v_fma_f32 v83, v15, v4, v83                                // 000000005C0C: D1CB0053 054E090F
	v_mfma_f32_16x16x32_fp8_fp8 v[12:15], a[104:105], a[0:1], 0// 000000005C14: D3F3000C 1A020168
	buffer_load_dwordx4 a[28:31], v35, s[24:27], 0 offen offset:1024// 000000005C1C: E05C1400 80861C23
	v_mfma_f32_16x16x32_fp8_fp8 v[12:15], a[106:107], a[2:3], v[12:15]// 000000005C24: D3F3000C 1C32056A
	v_mfma_f32_16x16x32_fp8_fp8 v[12:15], a[108:109], a[4:5], v[12:15]// 000000005C2C: D3F3000C 1C32096C
	v_mfma_f32_16x16x32_fp8_fp8 v[12:15], a[110:111], a[6:7], v[12:15]// 000000005C34: D3F3000C 1C320D6E
	v_fma_f32 v84, v8, v6, v84                                 // 000000005C3C: D1CB0054 05520D08
	v_fma_f32 v85, v9, v6, v85                                 // 000000005C44: D1CB0055 05560D09
	v_fma_f32 v86, v10, v6, v86                                // 000000005C4C: D1CB0056 055A0D0A
	v_fma_f32 v87, v11, v6, v87                                // 000000005C54: D1CB0057 055E0D0B
	v_mul_f32_dpp v4, v27, v31 row_newbcast:2 row_mask:0xf bank_mask:0xf// 000000005C5C: 0A083EFA FF01521B
	v_mfma_f32_16x16x32_fp8_fp8 v[8:11], a[112:113], a[0:1], 0 // 000000005C64: D3F30008 1A020170
	buffer_load_dwordx4 a[32:35], v36, s[24:27], 0 offen       // 000000005C6C: E05C1000 80862024
	v_mfma_f32_16x16x32_fp8_fp8 v[8:11], a[114:115], a[2:3], v[8:11]// 000000005C74: D3F30008 1C220572
	v_mfma_f32_16x16x32_fp8_fp8 v[8:11], a[116:117], a[4:5], v[8:11]// 000000005C7C: D3F30008 1C220974
	v_mfma_f32_16x16x32_fp8_fp8 v[8:11], a[118:119], a[6:7], v[8:11]// 000000005C84: D3F30008 1C220D76
	v_fma_f32 v88, v12, v6, v88                                // 000000005C8C: D1CB0058 05620D0C
	v_fma_f32 v89, v13, v6, v89                                // 000000005C94: D1CB0059 05660D0D
	v_fma_f32 v90, v14, v6, v90                                // 000000005C9C: D1CB005A 056A0D0E
	v_fma_f32 v91, v15, v6, v91                                // 000000005CA4: D1CB005B 056E0D0F
	v_mfma_f32_16x16x32_fp8_fp8 v[12:15], a[120:121], a[0:1], 0// 000000005CAC: D3F3000C 1A020178
	buffer_load_dwordx4 a[36:39], v36, s[24:27], 0 offen offset:1024// 000000005CB4: E05C1400 80862424
	v_mfma_f32_16x16x32_fp8_fp8 v[12:15], a[122:123], a[2:3], v[12:15]// 000000005CBC: D3F3000C 1C32057A
	v_mfma_f32_16x16x32_fp8_fp8 v[12:15], a[124:125], a[4:5], v[12:15]// 000000005CC4: D3F3000C 1C32097C
	v_mfma_f32_16x16x32_fp8_fp8 v[12:15], a[126:127], a[6:7], v[12:15]// 000000005CCC: D3F3000C 1C320D7E
	v_fma_f32 v92, v8, v4, v92                                 // 000000005CD4: D1CB005C 05720908
	v_fma_f32 v93, v9, v4, v93                                 // 000000005CDC: D1CB005D 05760909
	v_fma_f32 v94, v10, v4, v94                                // 000000005CE4: D1CB005E 057A090A
	v_fma_f32 v95, v11, v4, v95                                // 000000005CEC: D1CB005F 057E090B
	v_mul_f32_dpp v6, v27, v31 row_newbcast:3 row_mask:0xf bank_mask:0xf// 000000005CF4: 0A0C3EFA FF01531B
	v_mfma_f32_16x16x32_fp8_fp8 v[8:11], a[128:129], a[0:1], 0 // 000000005CFC: D3F30008 1A020180
	buffer_load_dwordx4 a[40:43], v37, s[24:27], 0 offen       // 000000005D04: E05C1000 80862825
	v_mfma_f32_16x16x32_fp8_fp8 v[8:11], a[130:131], a[2:3], v[8:11]// 000000005D0C: D3F30008 1C220582
	v_mfma_f32_16x16x32_fp8_fp8 v[8:11], a[132:133], a[4:5], v[8:11]// 000000005D14: D3F30008 1C220984
	s_add_u32 s60, 0x180, s80                                  // 000000005D1C: 803C50FF 00000180
	s_cmp_lt_u32 s60, s81                                      // 000000005D24: BF0A513C
	s_cselect_b32 s57, s57, 0                                  // 000000005D28: 85398039
	s_cselect_b32 s3, s3, 0                                    // 000000005D2C: 85038003
	v_mfma_f32_16x16x32_fp8_fp8 v[8:11], a[134:135], a[6:7], v[8:11]// 000000005D30: D3F30008 1C220D86
	s_add_u32 s60, 0x100, s80                                  // 000000005D38: 803C50FF 00000100
	s_cmp_lt_u32 s60, s81                                      // 000000005D40: BF0A513C
	s_cselect_b32 s58, s58, 0                                  // 000000005D44: 853A803A
	v_fma_f32 v96, v12, v4, v96                                // 000000005D48: D1CB0060 0582090C
	v_fma_f32 v97, v13, v4, v97                                // 000000005D50: D1CB0061 0586090D
	v_fma_f32 v98, v14, v4, v98                                // 000000005D58: D1CB0062 058A090E
	v_fma_f32 v99, v15, v4, v99                                // 000000005D60: D1CB0063 058E090F
	v_mfma_f32_16x16x32_fp8_fp8 v[12:15], a[136:137], a[0:1], 0// 000000005D68: D3F3000C 1A020188
	buffer_load_dwordx4 a[44:47], v37, s[24:27], 0 offen offset:1024// 000000005D70: E05C1400 80862C25
	v_mfma_f32_16x16x32_fp8_fp8 v[12:15], a[138:139], a[2:3], v[12:15]// 000000005D78: D3F3000C 1C32058A
	s_add_u32 s20, s57, s20                                    // 000000005D80: 80141439
	s_addc_u32 s21, 0, s21                                     // 000000005D84: 82151580
	s_add_u32 s28, s3, s28                                     // 000000005D88: 801C1C03
	s_addc_u32 s29, 0, s29                                     // 000000005D8C: 821D1D80
	v_mfma_f32_16x16x32_fp8_fp8 v[12:15], a[140:141], a[4:5], v[12:15]// 000000005D90: D3F3000C 1C32098C
	s_add_u32 s84, s83, s84                                    // 000000005D98: 80545453
	s_addc_u32 s85, 0, s85                                     // 000000005D9C: 82555580
	v_mfma_f32_16x16x32_fp8_fp8 v[12:15], a[142:143], a[6:7], v[12:15]// 000000005DA0: D3F3000C 1C320D8E
	v_fma_f32 v100, v8, v6, v100                               // 000000005DA8: D1CB0064 05920D08
	v_fma_f32 v101, v9, v6, v101                               // 000000005DB0: D1CB0065 05960D09
	v_fma_f32 v102, v10, v6, v102                              // 000000005DB8: D1CB0066 059A0D0A
	v_fma_f32 v103, v11, v6, v103                              // 000000005DC0: D1CB0067 059E0D0B
	v_fma_f32 v104, v12, v6, v104                              // 000000005DC8: D1CB0068 05A20D0C
	v_fma_f32 v105, v13, v6, v105                              // 000000005DD0: D1CB0069 05A60D0D
	v_fma_f32 v106, v14, v6, v106                              // 000000005DD8: D1CB006A 05AA0D0E
	v_fma_f32 v107, v15, v6, v107                              // 000000005DE0: D1CB006B 05AE0D0F
	buffer_load_dwordx4 a[48:51], v38, s[24:27], 0 offen       // 000000005DE8: E05C1000 80863026
	buffer_load_dwordx4 a[52:55], v38, s[24:27], 0 offen offset:1024// 000000005DF0: E05C1400 80863426
	buffer_load_dwordx4 a[56:59], v39, s[24:27], 0 offen       // 000000005DF8: E05C1000 80863827
	buffer_load_dwordx4 a[60:63], v39, s[24:27], 0 offen offset:1024// 000000005E00: E05C1400 80863C27
	buffer_load_dwordx4 a[64:67], v40, s[24:27], 0 offen       // 000000005E08: E05C1000 80864028
	buffer_load_dwordx4 a[68:71], v40, s[24:27], 0 offen offset:1024// 000000005E10: E05C1400 80864428
	buffer_load_dwordx4 a[72:75], v41, s[24:27], 0 offen       // 000000005E18: E05C1000 80864829
	buffer_load_dwordx4 a[76:79], v41, s[24:27], 0 offen offset:1024// 000000005E20: E05C1400 80864C29
	s_add_u32 s24, s58, s24                                    // 000000005E28: 8018183A
	s_addc_u32 s25, 0, s25                                     // 000000005E2C: 82191980
	s_addk_i32 s80, 0x80                                       // 000000005E30: B7500080
	s_cmp_lt_i32 s80, s81                                      // 000000005E34: BF045150
	s_cbranch_scc0 label_0EA2                                  // 000000005E38: BF840190
	s_waitcnt vmcnt(14) lgkmcnt(0)                             // 000000005E3C: BF8C007E
	s_barrier                                                  // 000000005E40: BF8A0000
	v_mov_b32_e32 v31, v30                                     // 000000005E44: 7E3E031E
	v_mul_f32_dpp v4, v24, v31 row_newbcast:0 row_mask:0xf bank_mask:0xf// 000000005E48: 0A083EFA FF015018
	v_mfma_f32_16x16x32_fp8_fp8 v[8:11], a[16:17], a[8:9], 0   // 000000005E50: D3F30008 1A021110
	buffer_load_dword v27, v23, s[32:35], 0 offen              // 000000005E58: E0501000 80081B17
	buffer_load_dwordx4 a[80:83], v34, s[84:87], 0 offen       // 000000005E60: E05C1000 80955022
	v_mfma_f32_16x16x32_fp8_fp8 v[8:11], a[18:19], a[10:11], v[8:11]// 000000005E68: D3F30008 1C221512
	v_mfma_f32_16x16x32_fp8_fp8 v[8:11], a[20:21], a[12:13], v[8:11]// 000000005E70: D3F30008 1C221914
	v_mfma_f32_16x16x32_fp8_fp8 v[8:11], a[22:23], a[14:15], v[8:11]// 000000005E78: D3F30008 1C221D16
	s_waitcnt vmcnt(14)                                        // 000000005E80: BF8C0F7E
	v_mul_f32_dpp v6, v24, v31 row_newbcast:0 row_mask:0xf bank_mask:0xf// 000000005E84: 0A0C3EFA FF015018
	v_mfma_f32_16x16x32_fp8_fp8 v[12:15], a[24:25], a[8:9], 0  // 000000005E8C: D3F3000C 1A021118
	buffer_load_dwordx4 a[84:87], v34, s[84:87], 0 offen offset:1024// 000000005E94: E05C1400 80955422
	v_mfma_f32_16x16x32_fp8_fp8 v[12:15], a[26:27], a[10:11], v[12:15]// 000000005E9C: D3F3000C 1C32151A
	v_mfma_f32_16x16x32_fp8_fp8 v[12:15], a[28:29], a[12:13], v[12:15]// 000000005EA4: D3F3000C 1C32191C
	v_mfma_f32_16x16x32_fp8_fp8 v[12:15], a[30:31], a[14:15], v[12:15]// 000000005EAC: D3F3000C 1C321D1E
	v_fma_f32 v44, v8, v4, v44                                 // 000000005EB4: D1CB002C 04B20908
	v_fma_f32 v45, v9, v4, v45                                 // 000000005EBC: D1CB002D 04B60909
	v_fma_f32 v46, v10, v4, v46                                // 000000005EC4: D1CB002E 04BA090A
	v_fma_f32 v47, v11, v4, v47                                // 000000005ECC: D1CB002F 04BE090B
	s_waitcnt vmcnt(13)                                        // 000000005ED4: BF8C0F7D
	v_mul_f32_dpp v4, v24, v31 row_newbcast:1 row_mask:0xf bank_mask:0xf// 000000005ED8: 0A083EFA FF015118
	v_mfma_f32_16x16x32_fp8_fp8 v[8:11], a[32:33], a[8:9], 0   // 000000005EE0: D3F30008 1A021120
	buffer_load_dwordx4 a[88:91], v35, s[84:87], 0 offen       // 000000005EE8: E05C1000 80955823
	v_mfma_f32_16x16x32_fp8_fp8 v[8:11], a[34:35], a[10:11], v[8:11]// 000000005EF0: D3F30008 1C221522
	v_mfma_f32_16x16x32_fp8_fp8 v[8:11], a[36:37], a[12:13], v[8:11]// 000000005EF8: D3F30008 1C221924
	v_mfma_f32_16x16x32_fp8_fp8 v[8:11], a[38:39], a[14:15], v[8:11]// 000000005F00: D3F30008 1C221D26
	v_fma_f32 v48, v12, v6, v48                                // 000000005F08: D1CB0030 04C20D0C
	v_fma_f32 v49, v13, v6, v49                                // 000000005F10: D1CB0031 04C60D0D
	v_fma_f32 v50, v14, v6, v50                                // 000000005F18: D1CB0032 04CA0D0E
	v_fma_f32 v51, v15, v6, v51                                // 000000005F20: D1CB0033 04CE0D0F
	s_waitcnt vmcnt(12)                                        // 000000005F28: BF8C0F7C
	v_mul_f32_dpp v6, v24, v31 row_newbcast:1 row_mask:0xf bank_mask:0xf// 000000005F2C: 0A0C3EFA FF015118
	v_mfma_f32_16x16x32_fp8_fp8 v[12:15], a[40:41], a[8:9], 0  // 000000005F34: D3F3000C 1A021128
	buffer_load_dwordx4 a[92:95], v35, s[84:87], 0 offen offset:1024// 000000005F3C: E05C1400 80955C23
	v_mfma_f32_16x16x32_fp8_fp8 v[12:15], a[42:43], a[10:11], v[12:15]// 000000005F44: D3F3000C 1C32152A
	v_mfma_f32_16x16x32_fp8_fp8 v[12:15], a[44:45], a[12:13], v[12:15]// 000000005F4C: D3F3000C 1C32192C
	v_mfma_f32_16x16x32_fp8_fp8 v[12:15], a[46:47], a[14:15], v[12:15]// 000000005F54: D3F3000C 1C321D2E
	v_fma_f32 v52, v8, v4, v52                                 // 000000005F5C: D1CB0034 04D20908
	v_fma_f32 v53, v9, v4, v53                                 // 000000005F64: D1CB0035 04D60909
	v_fma_f32 v54, v10, v4, v54                                // 000000005F6C: D1CB0036 04DA090A
	v_fma_f32 v55, v11, v4, v55                                // 000000005F74: D1CB0037 04DE090B
	s_waitcnt vmcnt(11)                                        // 000000005F7C: BF8C0F7B
	v_mul_f32_dpp v4, v24, v31 row_newbcast:2 row_mask:0xf bank_mask:0xf// 000000005F80: 0A083EFA FF015218
	v_mfma_f32_16x16x32_fp8_fp8 v[8:11], a[48:49], a[8:9], 0   // 000000005F88: D3F30008 1A021130
	buffer_load_dwordx4 a[96:99], v36, s[84:87], 0 offen       // 000000005F90: E05C1000 80956024
	v_mfma_f32_16x16x32_fp8_fp8 v[8:11], a[50:51], a[10:11], v[8:11]// 000000005F98: D3F30008 1C221532
	v_mfma_f32_16x16x32_fp8_fp8 v[8:11], a[52:53], a[12:13], v[8:11]// 000000005FA0: D3F30008 1C221934
	v_mfma_f32_16x16x32_fp8_fp8 v[8:11], a[54:55], a[14:15], v[8:11]// 000000005FA8: D3F30008 1C221D36
	v_fma_f32 v56, v12, v6, v56                                // 000000005FB0: D1CB0038 04E20D0C
	v_fma_f32 v57, v13, v6, v57                                // 000000005FB8: D1CB0039 04E60D0D
	v_fma_f32 v58, v14, v6, v58                                // 000000005FC0: D1CB003A 04EA0D0E
	v_fma_f32 v59, v15, v6, v59                                // 000000005FC8: D1CB003B 04EE0D0F
	s_waitcnt vmcnt(10)                                        // 000000005FD0: BF8C0F7A
	v_mul_f32_dpp v6, v24, v31 row_newbcast:2 row_mask:0xf bank_mask:0xf// 000000005FD4: 0A0C3EFA FF015218
	v_mfma_f32_16x16x32_fp8_fp8 v[12:15], a[56:57], a[8:9], 0  // 000000005FDC: D3F3000C 1A021138
	buffer_load_dwordx4 a[100:103], v36, s[84:87], 0 offen offset:1024// 000000005FE4: E05C1400 80956424
	v_mfma_f32_16x16x32_fp8_fp8 v[12:15], a[58:59], a[10:11], v[12:15]// 000000005FEC: D3F3000C 1C32153A
	v_mfma_f32_16x16x32_fp8_fp8 v[12:15], a[60:61], a[12:13], v[12:15]// 000000005FF4: D3F3000C 1C32193C
	v_mfma_f32_16x16x32_fp8_fp8 v[12:15], a[62:63], a[14:15], v[12:15]// 000000005FFC: D3F3000C 1C321D3E
	v_fma_f32 v60, v8, v4, v60                                 // 000000006004: D1CB003C 04F20908
	v_fma_f32 v61, v9, v4, v61                                 // 00000000600C: D1CB003D 04F60909
	v_fma_f32 v62, v10, v4, v62                                // 000000006014: D1CB003E 04FA090A
	v_fma_f32 v63, v11, v4, v63                                // 00000000601C: D1CB003F 04FE090B
	s_waitcnt vmcnt(9)                                         // 000000006024: BF8C0F79
	v_mul_f32_dpp v4, v24, v31 row_newbcast:3 row_mask:0xf bank_mask:0xf// 000000006028: 0A083EFA FF015318
	v_mfma_f32_16x16x32_fp8_fp8 v[8:11], a[64:65], a[8:9], 0   // 000000006030: D3F30008 1A021140
	buffer_load_dwordx4 a[104:107], v37, s[84:87], 0 offen     // 000000006038: E05C1000 80956825
	v_mfma_f32_16x16x32_fp8_fp8 v[8:11], a[66:67], a[10:11], v[8:11]// 000000006040: D3F30008 1C221542
	v_mfma_f32_16x16x32_fp8_fp8 v[8:11], a[68:69], a[12:13], v[8:11]// 000000006048: D3F30008 1C221944
	v_mfma_f32_16x16x32_fp8_fp8 v[8:11], a[70:71], a[14:15], v[8:11]// 000000006050: D3F30008 1C221D46
	v_fma_f32 v64, v12, v6, v64                                // 000000006058: D1CB0040 05020D0C
	v_fma_f32 v65, v13, v6, v65                                // 000000006060: D1CB0041 05060D0D
	v_fma_f32 v66, v14, v6, v66                                // 000000006068: D1CB0042 050A0D0E
	v_fma_f32 v67, v15, v6, v67                                // 000000006070: D1CB0043 050E0D0F
	s_waitcnt vmcnt(8)                                         // 000000006078: BF8C0F78
	v_mul_f32_dpp v6, v24, v31 row_newbcast:3 row_mask:0xf bank_mask:0xf// 00000000607C: 0A0C3EFA FF015318
	v_mfma_f32_16x16x32_fp8_fp8 v[12:15], a[72:73], a[8:9], 0  // 000000006084: D3F3000C 1A021148
	buffer_load_dwordx4 a[108:111], v37, s[84:87], 0 offen offset:1024// 00000000608C: E05C1400 80956C25
	v_mfma_f32_16x16x32_fp8_fp8 v[12:15], a[74:75], a[10:11], v[12:15]// 000000006094: D3F3000C 1C32154A
	s_add_u32 s60, 0x80, s80                                   // 00000000609C: 803C50FF 00000080
	s_cmp_lt_u32 s60, s81                                      // 0000000060A4: BF0A513C
	s_cselect_b32 s83, s83, 0                                  // 0000000060A8: 85538053
	s_cselect_b32 s4, s4, 0                                    // 0000000060AC: 85048004
	v_mfma_f32_16x16x32_fp8_fp8 v[12:15], a[76:77], a[12:13], v[12:15]// 0000000060B0: D3F3000C 1C32194C
	s_add_u32 s32, s4, s32                                     // 0000000060B8: 80202004
	s_addc_u32 s33, 0, s33                                     // 0000000060BC: 82212180
	v_mfma_f32_16x16x32_fp8_fp8 v[12:15], a[78:79], a[14:15], v[12:15]// 0000000060C0: D3F3000C 1C321D4E
	v_fma_f32 v68, v8, v4, v68                                 // 0000000060C8: D1CB0044 05120908
	v_fma_f32 v69, v9, v4, v69                                 // 0000000060D0: D1CB0045 05160909
	v_fma_f32 v70, v10, v4, v70                                // 0000000060D8: D1CB0046 051A090A
	v_fma_f32 v71, v11, v4, v71                                // 0000000060E0: D1CB0047 051E090B
	v_fma_f32 v72, v12, v6, v72                                // 0000000060E8: D1CB0048 05220D0C
	v_fma_f32 v73, v13, v6, v73                                // 0000000060F0: D1CB0049 05260D0D
	v_fma_f32 v74, v14, v6, v74                                // 0000000060F8: D1CB004A 052A0D0E
	v_fma_f32 v75, v15, v6, v75                                // 000000006100: D1CB004B 052E0D0F
	buffer_load_dwordx4 a[112:115], v38, s[84:87], 0 offen     // 000000006108: E05C1000 80957026
	buffer_load_dwordx4 a[116:119], v38, s[84:87], 0 offen offset:1024// 000000006110: E05C1400 80957426
	buffer_load_dwordx4 a[120:123], v39, s[84:87], 0 offen     // 000000006118: E05C1000 80957827
	buffer_load_dwordx4 a[124:127], v39, s[84:87], 0 offen offset:1024// 000000006120: E05C1400 80957C27
	buffer_load_dwordx4 a[128:131], v40, s[84:87], 0 offen     // 000000006128: E05C1000 80958028
	buffer_load_dwordx4 a[132:135], v40, s[84:87], 0 offen offset:1024// 000000006130: E05C1400 80958428
	buffer_load_dwordx4 a[136:139], v41, s[84:87], 0 offen     // 000000006138: E05C1000 80958829
	buffer_load_dwordx4 a[140:143], v41, s[84:87], 0 offen offset:1024// 000000006140: E05C1400 80958C29
	buffer_load_dword v32, s[20:23], 0 offen lds               // 000000006148: E0511000 80050020
	s_add_u32 m0, 0x100, s49                                   // 000000006150: 807C31FF 00000100
	buffer_load_dword v33, s[20:23], 0 offen lds               // 000000006158: E0511000 80050021
	s_add_u32 m0, 0, s48                                       // 000000006160: 807C3080
	buffer_load_dword v30, v28, s[28:31], 0 offen              // 000000006164: E0501000 80071E1C
	s_waitcnt vmcnt(3)                                         // 00000000616C: BF8C0F73
	v_mul_f32_dpp v4, v27, v31 row_newbcast:0 row_mask:0xf bank_mask:0xf// 000000006170: 0A083EFA FF01501B
	v_mfma_f32_16x16x32_fp8_fp8 v[8:11], a[80:81], a[8:9], 0   // 000000006178: D3F30008 1A021150
	buffer_load_dword v24, v22, s[32:35], 0 offen              // 000000006180: E0501000 80081816
	buffer_load_dwordx4 a[16:19], v34, s[24:27], 0 offen       // 000000006188: E05C1000 80861022
	v_mfma_f32_16x16x32_fp8_fp8 v[8:11], a[82:83], a[10:11], v[8:11]// 000000006190: D3F30008 1C221552
	v_mfma_f32_16x16x32_fp8_fp8 v[8:11], a[84:85], a[12:13], v[8:11]// 000000006198: D3F30008 1C221954
	ds_read_b128 a[0:3], v2                                    // 0000000061A0: DBFE0000 00000002
	ds_read_b128 a[4:7], v2 offset:64                          // 0000000061A8: DBFE0040 04000002
	v_mfma_f32_16x16x32_fp8_fp8 v[8:11], a[86:87], a[14:15], v[8:11]// 0000000061B0: D3F30008 1C221D56
	v_mfma_f32_16x16x32_fp8_fp8 v[12:15], a[88:89], a[8:9], 0  // 0000000061B8: D3F3000C 1A021158
	buffer_load_dwordx4 a[20:23], v34, s[24:27], 0 offen offset:1024// 0000000061C0: E05C1400 80861422
	v_mfma_f32_16x16x32_fp8_fp8 v[12:15], a[90:91], a[10:11], v[12:15]// 0000000061C8: D3F3000C 1C32155A
	v_mfma_f32_16x16x32_fp8_fp8 v[12:15], a[92:93], a[12:13], v[12:15]// 0000000061D0: D3F3000C 1C32195C
	v_mfma_f32_16x16x32_fp8_fp8 v[12:15], a[94:95], a[14:15], v[12:15]// 0000000061D8: D3F3000C 1C321D5E
	v_fma_f32 v76, v8, v4, v76                                 // 0000000061E0: D1CB004C 05320908
	v_fma_f32 v77, v9, v4, v77                                 // 0000000061E8: D1CB004D 05360909
	v_fma_f32 v78, v10, v4, v78                                // 0000000061F0: D1CB004E 053A090A
	v_fma_f32 v79, v11, v4, v79                                // 0000000061F8: D1CB004F 053E090B
	v_mul_f32_dpp v6, v27, v31 row_newbcast:1 row_mask:0xf bank_mask:0xf// 000000006200: 0A0C3EFA FF01511B
	v_mfma_f32_16x16x32_fp8_fp8 v[8:11], a[96:97], a[8:9], 0   // 000000006208: D3F30008 1A021160
	buffer_load_dwordx4 a[24:27], v35, s[24:27], 0 offen       // 000000006210: E05C1000 80861823
	v_mfma_f32_16x16x32_fp8_fp8 v[8:11], a[98:99], a[10:11], v[8:11]// 000000006218: D3F30008 1C221562
	v_mfma_f32_16x16x32_fp8_fp8 v[8:11], a[100:101], a[12:13], v[8:11]// 000000006220: D3F30008 1C221964
	v_mfma_f32_16x16x32_fp8_fp8 v[8:11], a[102:103], a[14:15], v[8:11]// 000000006228: D3F30008 1C221D66
	v_fma_f32 v80, v12, v4, v80                                // 000000006230: D1CB0050 0542090C
	v_fma_f32 v81, v13, v4, v81                                // 000000006238: D1CB0051 0546090D
	v_fma_f32 v82, v14, v4, v82                                // 000000006240: D1CB0052 054A090E
	v_fma_f32 v83, v15, v4, v83                                // 000000006248: D1CB0053 054E090F
	v_mfma_f32_16x16x32_fp8_fp8 v[12:15], a[104:105], a[8:9], 0// 000000006250: D3F3000C 1A021168
	buffer_load_dwordx4 a[28:31], v35, s[24:27], 0 offen offset:1024// 000000006258: E05C1400 80861C23
	v_mfma_f32_16x16x32_fp8_fp8 v[12:15], a[106:107], a[10:11], v[12:15]// 000000006260: D3F3000C 1C32156A
	v_mfma_f32_16x16x32_fp8_fp8 v[12:15], a[108:109], a[12:13], v[12:15]// 000000006268: D3F3000C 1C32196C
	v_mfma_f32_16x16x32_fp8_fp8 v[12:15], a[110:111], a[14:15], v[12:15]// 000000006270: D3F3000C 1C321D6E
	v_fma_f32 v84, v8, v6, v84                                 // 000000006278: D1CB0054 05520D08
	v_fma_f32 v85, v9, v6, v85                                 // 000000006280: D1CB0055 05560D09
	v_fma_f32 v86, v10, v6, v86                                // 000000006288: D1CB0056 055A0D0A
	v_fma_f32 v87, v11, v6, v87                                // 000000006290: D1CB0057 055E0D0B
	v_mul_f32_dpp v4, v27, v31 row_newbcast:2 row_mask:0xf bank_mask:0xf// 000000006298: 0A083EFA FF01521B
	v_mfma_f32_16x16x32_fp8_fp8 v[8:11], a[112:113], a[8:9], 0 // 0000000062A0: D3F30008 1A021170
	buffer_load_dwordx4 a[32:35], v36, s[24:27], 0 offen       // 0000000062A8: E05C1000 80862024
	v_mfma_f32_16x16x32_fp8_fp8 v[8:11], a[114:115], a[10:11], v[8:11]// 0000000062B0: D3F30008 1C221572
	v_mfma_f32_16x16x32_fp8_fp8 v[8:11], a[116:117], a[12:13], v[8:11]// 0000000062B8: D3F30008 1C221974
	v_mfma_f32_16x16x32_fp8_fp8 v[8:11], a[118:119], a[14:15], v[8:11]// 0000000062C0: D3F30008 1C221D76
	v_fma_f32 v88, v12, v6, v88                                // 0000000062C8: D1CB0058 05620D0C
	v_fma_f32 v89, v13, v6, v89                                // 0000000062D0: D1CB0059 05660D0D
	v_fma_f32 v90, v14, v6, v90                                // 0000000062D8: D1CB005A 056A0D0E
	v_fma_f32 v91, v15, v6, v91                                // 0000000062E0: D1CB005B 056E0D0F
	v_mfma_f32_16x16x32_fp8_fp8 v[12:15], a[120:121], a[8:9], 0// 0000000062E8: D3F3000C 1A021178
	buffer_load_dwordx4 a[36:39], v36, s[24:27], 0 offen offset:1024// 0000000062F0: E05C1400 80862424
	v_mfma_f32_16x16x32_fp8_fp8 v[12:15], a[122:123], a[10:11], v[12:15]// 0000000062F8: D3F3000C 1C32157A
	v_mfma_f32_16x16x32_fp8_fp8 v[12:15], a[124:125], a[12:13], v[12:15]// 000000006300: D3F3000C 1C32197C
	v_mfma_f32_16x16x32_fp8_fp8 v[12:15], a[126:127], a[14:15], v[12:15]// 000000006308: D3F3000C 1C321D7E
	v_fma_f32 v92, v8, v4, v92                                 // 000000006310: D1CB005C 05720908
	v_fma_f32 v93, v9, v4, v93                                 // 000000006318: D1CB005D 05760909
	v_fma_f32 v94, v10, v4, v94                                // 000000006320: D1CB005E 057A090A
	v_fma_f32 v95, v11, v4, v95                                // 000000006328: D1CB005F 057E090B
	v_mul_f32_dpp v6, v27, v31 row_newbcast:3 row_mask:0xf bank_mask:0xf// 000000006330: 0A0C3EFA FF01531B
	v_mfma_f32_16x16x32_fp8_fp8 v[8:11], a[128:129], a[8:9], 0 // 000000006338: D3F30008 1A021180
	buffer_load_dwordx4 a[40:43], v37, s[24:27], 0 offen       // 000000006340: E05C1000 80862825
	v_mfma_f32_16x16x32_fp8_fp8 v[8:11], a[130:131], a[10:11], v[8:11]// 000000006348: D3F30008 1C221582
	v_mfma_f32_16x16x32_fp8_fp8 v[8:11], a[132:133], a[12:13], v[8:11]// 000000006350: D3F30008 1C221984
	s_add_u32 s60, 0x180, s80                                  // 000000006358: 803C50FF 00000180
	s_cmp_lt_u32 s60, s81                                      // 000000006360: BF0A513C
	s_cselect_b32 s57, s57, 0                                  // 000000006364: 85398039
	s_cselect_b32 s3, s3, 0                                    // 000000006368: 85038003
	v_mfma_f32_16x16x32_fp8_fp8 v[8:11], a[134:135], a[14:15], v[8:11]// 00000000636C: D3F30008 1C221D86
	s_add_u32 s60, 0x100, s80                                  // 000000006374: 803C50FF 00000100
	s_cmp_lt_u32 s60, s81                                      // 00000000637C: BF0A513C
	s_cselect_b32 s58, s58, 0                                  // 000000006380: 853A803A
	v_fma_f32 v96, v12, v4, v96                                // 000000006384: D1CB0060 0582090C
	v_fma_f32 v97, v13, v4, v97                                // 00000000638C: D1CB0061 0586090D
	v_fma_f32 v98, v14, v4, v98                                // 000000006394: D1CB0062 058A090E
	v_fma_f32 v99, v15, v4, v99                                // 00000000639C: D1CB0063 058E090F
	v_mfma_f32_16x16x32_fp8_fp8 v[12:15], a[136:137], a[8:9], 0// 0000000063A4: D3F3000C 1A021188
	buffer_load_dwordx4 a[44:47], v37, s[24:27], 0 offen offset:1024// 0000000063AC: E05C1400 80862C25
	v_mfma_f32_16x16x32_fp8_fp8 v[12:15], a[138:139], a[10:11], v[12:15]// 0000000063B4: D3F3000C 1C32158A
	s_add_u32 s20, s57, s20                                    // 0000000063BC: 80141439
	s_addc_u32 s21, 0, s21                                     // 0000000063C0: 82151580
	s_add_u32 s28, s3, s28                                     // 0000000063C4: 801C1C03
	s_addc_u32 s29, 0, s29                                     // 0000000063C8: 821D1D80
	v_mfma_f32_16x16x32_fp8_fp8 v[12:15], a[140:141], a[12:13], v[12:15]// 0000000063CC: D3F3000C 1C32198C
	s_add_u32 s84, s83, s84                                    // 0000000063D4: 80545453
	s_addc_u32 s85, 0, s85                                     // 0000000063D8: 82555580
	v_mfma_f32_16x16x32_fp8_fp8 v[12:15], a[142:143], a[14:15], v[12:15]// 0000000063DC: D3F3000C 1C321D8E
	v_fma_f32 v100, v8, v6, v100                               // 0000000063E4: D1CB0064 05920D08
	v_fma_f32 v101, v9, v6, v101                               // 0000000063EC: D1CB0065 05960D09
	v_fma_f32 v102, v10, v6, v102                              // 0000000063F4: D1CB0066 059A0D0A
	v_fma_f32 v103, v11, v6, v103                              // 0000000063FC: D1CB0067 059E0D0B
	v_fma_f32 v104, v12, v6, v104                              // 000000006404: D1CB0068 05A20D0C
	v_fma_f32 v105, v13, v6, v105                              // 00000000640C: D1CB0069 05A60D0D
	v_fma_f32 v106, v14, v6, v106                              // 000000006414: D1CB006A 05AA0D0E
	v_fma_f32 v107, v15, v6, v107                              // 00000000641C: D1CB006B 05AE0D0F
	buffer_load_dwordx4 a[48:51], v38, s[24:27], 0 offen       // 000000006424: E05C1000 80863026
	buffer_load_dwordx4 a[52:55], v38, s[24:27], 0 offen offset:1024// 00000000642C: E05C1400 80863426
	buffer_load_dwordx4 a[56:59], v39, s[24:27], 0 offen       // 000000006434: E05C1000 80863827
	buffer_load_dwordx4 a[60:63], v39, s[24:27], 0 offen offset:1024// 00000000643C: E05C1400 80863C27
	buffer_load_dwordx4 a[64:67], v40, s[24:27], 0 offen       // 000000006444: E05C1000 80864028
	buffer_load_dwordx4 a[68:71], v40, s[24:27], 0 offen offset:1024// 00000000644C: E05C1400 80864428
	buffer_load_dwordx4 a[72:75], v41, s[24:27], 0 offen       // 000000006454: E05C1000 80864829
	buffer_load_dwordx4 a[76:79], v41, s[24:27], 0 offen offset:1024// 00000000645C: E05C1400 80864C29
	s_add_u32 s24, s58, s24                                    // 000000006464: 8018183A
	s_addc_u32 s25, 0, s25                                     // 000000006468: 82191980
	s_addk_i32 s80, 0x80                                       // 00000000646C: B7500080
	s_cmp_lt_i32 s80, s81                                      // 000000006470: BF045150
	s_cbranch_scc0 label_0EA2                                  // 000000006474: BF840001
	s_branch label_0B83                                        // 000000006478: BF82FCE1

000000000000647c <label_0EA2>:
	s_cmp_eq_u32 s88, 0                                        // 00000000647C: BF068058
	s_cbranch_scc0 label_131B                                  // 000000006480: BF840477
	s_cmp_eq_u32 s89, 0                                        // 000000006484: BF068059
	s_cbranch_scc1 label_0FEB                                  // 000000006488: BF850145
	v_mov_b32_e32 v8, v1                                       // 00000000648C: 7E100301
	v_mov_b32_e32 v9, v1                                       // 000000006490: 7E120301
	s_mov_b32 s60, s6                                          // 000000006494: BEBC0006
	s_mov_b32 s61, s6                                          // 000000006498: BEBD0006
	v_pk_mul_f32 v[4:5], v[44:45], v[44:45]                    // 00000000649C: D3B14004 1802592C
	v_pk_mul_f32 v[6:7], v[46:47], v[46:47]                    // 0000000064A4: D3B14006 18025D2E
	v_pk_fma_f32 v[4:5], v[4:5], s[78:79], v[8:9]              // 0000000064AC: D3B04004 1C209D04
	v_pk_fma_f32 v[6:7], v[6:7], s[78:79], v[8:9]              // 0000000064B4: D3B04006 1C209D06
	v_pk_mul_f32 v[4:5], v[4:5], v[44:45]                      // 0000000064BC: D3B14004 18025904
	v_pk_mul_f32 v[6:7], v[6:7], v[46:47]                      // 0000000064C4: D3B14006 18025D06
	v_pk_mul_f32 v[4:5], v[4:5], s[60:61]                      // 0000000064CC: D3B14004 18007904
	v_pk_mul_f32 v[6:7], v[6:7], s[60:61]                      // 0000000064D4: D3B14006 18007906
	v_exp_f32_e32 v4, v4                                       // 0000000064DC: 7E084104
	v_exp_f32_e32 v5, v5                                       // 0000000064E0: 7E0A4105
	v_exp_f32_e32 v6, v6                                       // 0000000064E4: 7E0C4106
	v_exp_f32_e32 v7, v7                                       // 0000000064E8: 7E0E4107
	v_add_f32_e64 v4, v4, 1.0                                  // 0000000064EC: D1010004 0001E504
	v_add_f32_e64 v5, v5, 1.0                                  // 0000000064F4: D1010005 0001E505
	v_add_f32_e64 v6, v6, 1.0                                  // 0000000064FC: D1010006 0001E506
	v_add_f32_e64 v7, v7, 1.0                                  // 000000006504: D1010007 0001E507
	v_rcp_f32_e32 v4, v4                                       // 00000000650C: 7E084504
	v_rcp_f32_e32 v5, v5                                       // 000000006510: 7E0A4505
	v_rcp_f32_e32 v6, v6                                       // 000000006514: 7E0C4506
	v_rcp_f32_e32 v7, v7                                       // 000000006518: 7E0E4507
	v_mul_f32_e32 v44, v44, v4                                 // 00000000651C: 0A58092C
	v_mul_f32_e32 v45, v45, v5                                 // 000000006520: 0A5A0B2D
	v_mul_f32_e32 v46, v46, v6                                 // 000000006524: 0A5C0D2E
	v_mul_f32_e32 v47, v47, v7                                 // 000000006528: 0A5E0F2F
	v_mul_f32_e32 v44, v44, v76                                // 00000000652C: 0A58992C
	v_mul_f32_e32 v45, v45, v77                                // 000000006530: 0A5A9B2D
	v_mul_f32_e32 v46, v46, v78                                // 000000006534: 0A5C9D2E
	v_mul_f32_e32 v47, v47, v79                                // 000000006538: 0A5E9F2F
	v_pk_mul_f32 v[4:5], v[48:49], v[48:49]                    // 00000000653C: D3B14004 18026130
	v_pk_mul_f32 v[6:7], v[50:51], v[50:51]                    // 000000006544: D3B14006 18026532
	v_pk_fma_f32 v[4:5], v[4:5], s[78:79], v[8:9]              // 00000000654C: D3B04004 1C209D04
	v_pk_fma_f32 v[6:7], v[6:7], s[78:79], v[8:9]              // 000000006554: D3B04006 1C209D06
	v_pk_mul_f32 v[4:5], v[4:5], v[48:49]                      // 00000000655C: D3B14004 18026104
	v_pk_mul_f32 v[6:7], v[6:7], v[50:51]                      // 000000006564: D3B14006 18026506
	v_pk_mul_f32 v[4:5], v[4:5], s[60:61]                      // 00000000656C: D3B14004 18007904
	v_pk_mul_f32 v[6:7], v[6:7], s[60:61]                      // 000000006574: D3B14006 18007906
	v_exp_f32_e32 v4, v4                                       // 00000000657C: 7E084104
	v_exp_f32_e32 v5, v5                                       // 000000006580: 7E0A4105
	v_exp_f32_e32 v6, v6                                       // 000000006584: 7E0C4106
	v_exp_f32_e32 v7, v7                                       // 000000006588: 7E0E4107
	v_add_f32_e64 v4, v4, 1.0                                  // 00000000658C: D1010004 0001E504
	v_add_f32_e64 v5, v5, 1.0                                  // 000000006594: D1010005 0001E505
	v_add_f32_e64 v6, v6, 1.0                                  // 00000000659C: D1010006 0001E506
	v_add_f32_e64 v7, v7, 1.0                                  // 0000000065A4: D1010007 0001E507
	v_rcp_f32_e32 v4, v4                                       // 0000000065AC: 7E084504
	v_rcp_f32_e32 v5, v5                                       // 0000000065B0: 7E0A4505
	v_rcp_f32_e32 v6, v6                                       // 0000000065B4: 7E0C4506
	v_rcp_f32_e32 v7, v7                                       // 0000000065B8: 7E0E4507
	v_mul_f32_e32 v48, v48, v4                                 // 0000000065BC: 0A600930
	v_mul_f32_e32 v49, v49, v5                                 // 0000000065C0: 0A620B31
	v_mul_f32_e32 v50, v50, v6                                 // 0000000065C4: 0A640D32
	v_mul_f32_e32 v51, v51, v7                                 // 0000000065C8: 0A660F33
	v_mul_f32_e32 v48, v48, v80                                // 0000000065CC: 0A60A130
	v_mul_f32_e32 v49, v49, v81                                // 0000000065D0: 0A62A331
	v_mul_f32_e32 v50, v50, v82                                // 0000000065D4: 0A64A532
	v_mul_f32_e32 v51, v51, v83                                // 0000000065D8: 0A66A733
	v_pk_mul_f32 v[4:5], v[52:53], v[52:53]                    // 0000000065DC: D3B14004 18026934
	v_pk_mul_f32 v[6:7], v[54:55], v[54:55]                    // 0000000065E4: D3B14006 18026D36
	v_pk_fma_f32 v[4:5], v[4:5], s[78:79], v[8:9]              // 0000000065EC: D3B04004 1C209D04
	v_pk_fma_f32 v[6:7], v[6:7], s[78:79], v[8:9]              // 0000000065F4: D3B04006 1C209D06
	v_pk_mul_f32 v[4:5], v[4:5], v[52:53]                      // 0000000065FC: D3B14004 18026904
	v_pk_mul_f32 v[6:7], v[6:7], v[54:55]                      // 000000006604: D3B14006 18026D06
	v_pk_mul_f32 v[4:5], v[4:5], s[60:61]                      // 00000000660C: D3B14004 18007904
	v_pk_mul_f32 v[6:7], v[6:7], s[60:61]                      // 000000006614: D3B14006 18007906
	v_exp_f32_e32 v4, v4                                       // 00000000661C: 7E084104
	v_exp_f32_e32 v5, v5                                       // 000000006620: 7E0A4105
	v_exp_f32_e32 v6, v6                                       // 000000006624: 7E0C4106
	v_exp_f32_e32 v7, v7                                       // 000000006628: 7E0E4107
	v_add_f32_e64 v4, v4, 1.0                                  // 00000000662C: D1010004 0001E504
	v_add_f32_e64 v5, v5, 1.0                                  // 000000006634: D1010005 0001E505
	v_add_f32_e64 v6, v6, 1.0                                  // 00000000663C: D1010006 0001E506
	v_add_f32_e64 v7, v7, 1.0                                  // 000000006644: D1010007 0001E507
	v_rcp_f32_e32 v4, v4                                       // 00000000664C: 7E084504
	v_rcp_f32_e32 v5, v5                                       // 000000006650: 7E0A4505
	v_rcp_f32_e32 v6, v6                                       // 000000006654: 7E0C4506
	v_rcp_f32_e32 v7, v7                                       // 000000006658: 7E0E4507
	v_mul_f32_e32 v52, v52, v4                                 // 00000000665C: 0A680934
	v_mul_f32_e32 v53, v53, v5                                 // 000000006660: 0A6A0B35
	v_mul_f32_e32 v54, v54, v6                                 // 000000006664: 0A6C0D36
	v_mul_f32_e32 v55, v55, v7                                 // 000000006668: 0A6E0F37
	v_mul_f32_e32 v52, v52, v84                                // 00000000666C: 0A68A934
	v_mul_f32_e32 v53, v53, v85                                // 000000006670: 0A6AAB35
	v_mul_f32_e32 v54, v54, v86                                // 000000006674: 0A6CAD36
	v_mul_f32_e32 v55, v55, v87                                // 000000006678: 0A6EAF37
	v_pk_mul_f32 v[4:5], v[56:57], v[56:57]                    // 00000000667C: D3B14004 18027138
	v_pk_mul_f32 v[6:7], v[58:59], v[58:59]                    // 000000006684: D3B14006 1802753A
	v_pk_fma_f32 v[4:5], v[4:5], s[78:79], v[8:9]              // 00000000668C: D3B04004 1C209D04
	v_pk_fma_f32 v[6:7], v[6:7], s[78:79], v[8:9]              // 000000006694: D3B04006 1C209D06
	v_pk_mul_f32 v[4:5], v[4:5], v[56:57]                      // 00000000669C: D3B14004 18027104
	v_pk_mul_f32 v[6:7], v[6:7], v[58:59]                      // 0000000066A4: D3B14006 18027506
	v_pk_mul_f32 v[4:5], v[4:5], s[60:61]                      // 0000000066AC: D3B14004 18007904
	v_pk_mul_f32 v[6:7], v[6:7], s[60:61]                      // 0000000066B4: D3B14006 18007906
	v_exp_f32_e32 v4, v4                                       // 0000000066BC: 7E084104
	v_exp_f32_e32 v5, v5                                       // 0000000066C0: 7E0A4105
	v_exp_f32_e32 v6, v6                                       // 0000000066C4: 7E0C4106
	v_exp_f32_e32 v7, v7                                       // 0000000066C8: 7E0E4107
	v_add_f32_e64 v4, v4, 1.0                                  // 0000000066CC: D1010004 0001E504
	v_add_f32_e64 v5, v5, 1.0                                  // 0000000066D4: D1010005 0001E505
	v_add_f32_e64 v6, v6, 1.0                                  // 0000000066DC: D1010006 0001E506
	v_add_f32_e64 v7, v7, 1.0                                  // 0000000066E4: D1010007 0001E507
	v_rcp_f32_e32 v4, v4                                       // 0000000066EC: 7E084504
	v_rcp_f32_e32 v5, v5                                       // 0000000066F0: 7E0A4505
	v_rcp_f32_e32 v6, v6                                       // 0000000066F4: 7E0C4506
	v_rcp_f32_e32 v7, v7                                       // 0000000066F8: 7E0E4507
	v_mul_f32_e32 v56, v56, v4                                 // 0000000066FC: 0A700938
	v_mul_f32_e32 v57, v57, v5                                 // 000000006700: 0A720B39
	v_mul_f32_e32 v58, v58, v6                                 // 000000006704: 0A740D3A
	v_mul_f32_e32 v59, v59, v7                                 // 000000006708: 0A760F3B
	v_mul_f32_e32 v56, v56, v88                                // 00000000670C: 0A70B138
	v_mul_f32_e32 v57, v57, v89                                // 000000006710: 0A72B339
	v_mul_f32_e32 v58, v58, v90                                // 000000006714: 0A74B53A
	v_mul_f32_e32 v59, v59, v91                                // 000000006718: 0A76B73B
	v_pk_mul_f32 v[4:5], v[60:61], v[60:61]                    // 00000000671C: D3B14004 1802793C
	v_pk_mul_f32 v[6:7], v[62:63], v[62:63]                    // 000000006724: D3B14006 18027D3E
	v_pk_fma_f32 v[4:5], v[4:5], s[78:79], v[8:9]              // 00000000672C: D3B04004 1C209D04
	v_pk_fma_f32 v[6:7], v[6:7], s[78:79], v[8:9]              // 000000006734: D3B04006 1C209D06
	v_pk_mul_f32 v[4:5], v[4:5], v[60:61]                      // 00000000673C: D3B14004 18027904
	v_pk_mul_f32 v[6:7], v[6:7], v[62:63]                      // 000000006744: D3B14006 18027D06
	v_pk_mul_f32 v[4:5], v[4:5], s[60:61]                      // 00000000674C: D3B14004 18007904
	v_pk_mul_f32 v[6:7], v[6:7], s[60:61]                      // 000000006754: D3B14006 18007906
	v_exp_f32_e32 v4, v4                                       // 00000000675C: 7E084104
	v_exp_f32_e32 v5, v5                                       // 000000006760: 7E0A4105
	v_exp_f32_e32 v6, v6                                       // 000000006764: 7E0C4106
	v_exp_f32_e32 v7, v7                                       // 000000006768: 7E0E4107
	v_add_f32_e64 v4, v4, 1.0                                  // 00000000676C: D1010004 0001E504
	v_add_f32_e64 v5, v5, 1.0                                  // 000000006774: D1010005 0001E505
	v_add_f32_e64 v6, v6, 1.0                                  // 00000000677C: D1010006 0001E506
	v_add_f32_e64 v7, v7, 1.0                                  // 000000006784: D1010007 0001E507
	v_rcp_f32_e32 v4, v4                                       // 00000000678C: 7E084504
	v_rcp_f32_e32 v5, v5                                       // 000000006790: 7E0A4505
	v_rcp_f32_e32 v6, v6                                       // 000000006794: 7E0C4506
	v_rcp_f32_e32 v7, v7                                       // 000000006798: 7E0E4507
	v_mul_f32_e32 v60, v60, v4                                 // 00000000679C: 0A78093C
	v_mul_f32_e32 v61, v61, v5                                 // 0000000067A0: 0A7A0B3D
	v_mul_f32_e32 v62, v62, v6                                 // 0000000067A4: 0A7C0D3E
	v_mul_f32_e32 v63, v63, v7                                 // 0000000067A8: 0A7E0F3F
	v_mul_f32_e32 v60, v60, v92                                // 0000000067AC: 0A78B93C
	v_mul_f32_e32 v61, v61, v93                                // 0000000067B0: 0A7ABB3D
	v_mul_f32_e32 v62, v62, v94                                // 0000000067B4: 0A7CBD3E
	v_mul_f32_e32 v63, v63, v95                                // 0000000067B8: 0A7EBF3F
	v_pk_mul_f32 v[4:5], v[64:65], v[64:65]                    // 0000000067BC: D3B14004 18028140
	v_pk_mul_f32 v[6:7], v[66:67], v[66:67]                    // 0000000067C4: D3B14006 18028542
	v_pk_fma_f32 v[4:5], v[4:5], s[78:79], v[8:9]              // 0000000067CC: D3B04004 1C209D04
	v_pk_fma_f32 v[6:7], v[6:7], s[78:79], v[8:9]              // 0000000067D4: D3B04006 1C209D06
	v_pk_mul_f32 v[4:5], v[4:5], v[64:65]                      // 0000000067DC: D3B14004 18028104
	v_pk_mul_f32 v[6:7], v[6:7], v[66:67]                      // 0000000067E4: D3B14006 18028506
	v_pk_mul_f32 v[4:5], v[4:5], s[60:61]                      // 0000000067EC: D3B14004 18007904
	v_pk_mul_f32 v[6:7], v[6:7], s[60:61]                      // 0000000067F4: D3B14006 18007906
	v_exp_f32_e32 v4, v4                                       // 0000000067FC: 7E084104
	v_exp_f32_e32 v5, v5                                       // 000000006800: 7E0A4105
	v_exp_f32_e32 v6, v6                                       // 000000006804: 7E0C4106
	v_exp_f32_e32 v7, v7                                       // 000000006808: 7E0E4107
	v_add_f32_e64 v4, v4, 1.0                                  // 00000000680C: D1010004 0001E504
	v_add_f32_e64 v5, v5, 1.0                                  // 000000006814: D1010005 0001E505
	v_add_f32_e64 v6, v6, 1.0                                  // 00000000681C: D1010006 0001E506
	v_add_f32_e64 v7, v7, 1.0                                  // 000000006824: D1010007 0001E507
	v_rcp_f32_e32 v4, v4                                       // 00000000682C: 7E084504
	v_rcp_f32_e32 v5, v5                                       // 000000006830: 7E0A4505
	v_rcp_f32_e32 v6, v6                                       // 000000006834: 7E0C4506
	v_rcp_f32_e32 v7, v7                                       // 000000006838: 7E0E4507
	v_mul_f32_e32 v64, v64, v4                                 // 00000000683C: 0A800940
	v_mul_f32_e32 v65, v65, v5                                 // 000000006840: 0A820B41
	v_mul_f32_e32 v66, v66, v6                                 // 000000006844: 0A840D42
	v_mul_f32_e32 v67, v67, v7                                 // 000000006848: 0A860F43
	v_mul_f32_e32 v64, v64, v96                                // 00000000684C: 0A80C140
	v_mul_f32_e32 v65, v65, v97                                // 000000006850: 0A82C341
	v_mul_f32_e32 v66, v66, v98                                // 000000006854: 0A84C542
	v_mul_f32_e32 v67, v67, v99                                // 000000006858: 0A86C743
	v_pk_mul_f32 v[4:5], v[68:69], v[68:69]                    // 00000000685C: D3B14004 18028944
	v_pk_mul_f32 v[6:7], v[70:71], v[70:71]                    // 000000006864: D3B14006 18028D46
	v_pk_fma_f32 v[4:5], v[4:5], s[78:79], v[8:9]              // 00000000686C: D3B04004 1C209D04
	v_pk_fma_f32 v[6:7], v[6:7], s[78:79], v[8:9]              // 000000006874: D3B04006 1C209D06
	v_pk_mul_f32 v[4:5], v[4:5], v[68:69]                      // 00000000687C: D3B14004 18028904
	v_pk_mul_f32 v[6:7], v[6:7], v[70:71]                      // 000000006884: D3B14006 18028D06
	v_pk_mul_f32 v[4:5], v[4:5], s[60:61]                      // 00000000688C: D3B14004 18007904
	v_pk_mul_f32 v[6:7], v[6:7], s[60:61]                      // 000000006894: D3B14006 18007906
	v_exp_f32_e32 v4, v4                                       // 00000000689C: 7E084104
	v_exp_f32_e32 v5, v5                                       // 0000000068A0: 7E0A4105
	v_exp_f32_e32 v6, v6                                       // 0000000068A4: 7E0C4106
	v_exp_f32_e32 v7, v7                                       // 0000000068A8: 7E0E4107
	v_add_f32_e64 v4, v4, 1.0                                  // 0000000068AC: D1010004 0001E504
	v_add_f32_e64 v5, v5, 1.0                                  // 0000000068B4: D1010005 0001E505
	v_add_f32_e64 v6, v6, 1.0                                  // 0000000068BC: D1010006 0001E506
	v_add_f32_e64 v7, v7, 1.0                                  // 0000000068C4: D1010007 0001E507
	v_rcp_f32_e32 v4, v4                                       // 0000000068CC: 7E084504
	v_rcp_f32_e32 v5, v5                                       // 0000000068D0: 7E0A4505
	v_rcp_f32_e32 v6, v6                                       // 0000000068D4: 7E0C4506
	v_rcp_f32_e32 v7, v7                                       // 0000000068D8: 7E0E4507
	v_mul_f32_e32 v68, v68, v4                                 // 0000000068DC: 0A880944
	v_mul_f32_e32 v69, v69, v5                                 // 0000000068E0: 0A8A0B45
	v_mul_f32_e32 v70, v70, v6                                 // 0000000068E4: 0A8C0D46
	v_mul_f32_e32 v71, v71, v7                                 // 0000000068E8: 0A8E0F47
	v_mul_f32_e32 v68, v68, v100                               // 0000000068EC: 0A88C944
	v_mul_f32_e32 v69, v69, v101                               // 0000000068F0: 0A8ACB45
	v_mul_f32_e32 v70, v70, v102                               // 0000000068F4: 0A8CCD46
	v_mul_f32_e32 v71, v71, v103                               // 0000000068F8: 0A8ECF47
	v_pk_mul_f32 v[4:5], v[72:73], v[72:73]                    // 0000000068FC: D3B14004 18029148
	v_pk_mul_f32 v[6:7], v[74:75], v[74:75]                    // 000000006904: D3B14006 1802954A
	v_pk_fma_f32 v[4:5], v[4:5], s[78:79], v[8:9]              // 00000000690C: D3B04004 1C209D04
	v_pk_fma_f32 v[6:7], v[6:7], s[78:79], v[8:9]              // 000000006914: D3B04006 1C209D06
	v_pk_mul_f32 v[4:5], v[4:5], v[72:73]                      // 00000000691C: D3B14004 18029104
	v_pk_mul_f32 v[6:7], v[6:7], v[74:75]                      // 000000006924: D3B14006 18029506
	v_pk_mul_f32 v[4:5], v[4:5], s[60:61]                      // 00000000692C: D3B14004 18007904
	v_pk_mul_f32 v[6:7], v[6:7], s[60:61]                      // 000000006934: D3B14006 18007906
	v_exp_f32_e32 v4, v4                                       // 00000000693C: 7E084104
	v_exp_f32_e32 v5, v5                                       // 000000006940: 7E0A4105
	v_exp_f32_e32 v6, v6                                       // 000000006944: 7E0C4106
	v_exp_f32_e32 v7, v7                                       // 000000006948: 7E0E4107
	v_add_f32_e64 v4, v4, 1.0                                  // 00000000694C: D1010004 0001E504
	v_add_f32_e64 v5, v5, 1.0                                  // 000000006954: D1010005 0001E505
	v_add_f32_e64 v6, v6, 1.0                                  // 00000000695C: D1010006 0001E506
	v_add_f32_e64 v7, v7, 1.0                                  // 000000006964: D1010007 0001E507
	v_rcp_f32_e32 v4, v4                                       // 00000000696C: 7E084504
	v_rcp_f32_e32 v5, v5                                       // 000000006970: 7E0A4505
	v_rcp_f32_e32 v6, v6                                       // 000000006974: 7E0C4506
	v_rcp_f32_e32 v7, v7                                       // 000000006978: 7E0E4507
	v_mul_f32_e32 v72, v72, v4                                 // 00000000697C: 0A900948
	v_mul_f32_e32 v73, v73, v5                                 // 000000006980: 0A920B49
	v_mul_f32_e32 v74, v74, v6                                 // 000000006984: 0A940D4A
	v_mul_f32_e32 v75, v75, v7                                 // 000000006988: 0A960F4B
	v_mul_f32_e32 v72, v72, v104                               // 00000000698C: 0A90D148
	v_mul_f32_e32 v73, v73, v105                               // 000000006990: 0A92D349
	v_mul_f32_e32 v74, v74, v106                               // 000000006994: 0A94D54A
	v_mul_f32_e32 v75, v75, v107                               // 000000006998: 0A96D74B
	s_branch label_10EB                                        // 00000000699C: BF820100

00000000000069a0 <label_0FEB>:
	v_mul_f32_e64 v4, -v44, s6                                 // 0000000069A0: D1050004 20000D2C
	v_mul_f32_e64 v5, -v45, s6                                 // 0000000069A8: D1050005 20000D2D
	v_mul_f32_e64 v6, -v46, s6                                 // 0000000069B0: D1050006 20000D2E
	v_mul_f32_e64 v7, -v47, s6                                 // 0000000069B8: D1050007 20000D2F
	v_exp_f32_e32 v4, v4                                       // 0000000069C0: 7E084104
	v_exp_f32_e32 v5, v5                                       // 0000000069C4: 7E0A4105
	v_exp_f32_e32 v6, v6                                       // 0000000069C8: 7E0C4106
	v_exp_f32_e32 v7, v7                                       // 0000000069CC: 7E0E4107
	v_add_f32_e64 v4, v4, 1.0                                  // 0000000069D0: D1010004 0001E504
	v_add_f32_e64 v5, v5, 1.0                                  // 0000000069D8: D1010005 0001E505
	v_add_f32_e64 v6, v6, 1.0                                  // 0000000069E0: D1010006 0001E506
	v_add_f32_e64 v7, v7, 1.0                                  // 0000000069E8: D1010007 0001E507
	v_rcp_f32_e32 v4, v4                                       // 0000000069F0: 7E084504
	v_rcp_f32_e32 v5, v5                                       // 0000000069F4: 7E0A4505
	v_rcp_f32_e32 v6, v6                                       // 0000000069F8: 7E0C4506
	v_rcp_f32_e32 v7, v7                                       // 0000000069FC: 7E0E4507
	v_mul_f32_e32 v44, v44, v4                                 // 000000006A00: 0A58092C
	v_mul_f32_e32 v45, v45, v5                                 // 000000006A04: 0A5A0B2D
	v_mul_f32_e32 v46, v46, v6                                 // 000000006A08: 0A5C0D2E
	v_mul_f32_e32 v47, v47, v7                                 // 000000006A0C: 0A5E0F2F
	v_mul_f32_e32 v44, v44, v76                                // 000000006A10: 0A58992C
	v_mul_f32_e32 v45, v45, v77                                // 000000006A14: 0A5A9B2D
	v_mul_f32_e32 v46, v46, v78                                // 000000006A18: 0A5C9D2E
	v_mul_f32_e32 v47, v47, v79                                // 000000006A1C: 0A5E9F2F
	v_mul_f32_e64 v4, -v48, s6                                 // 000000006A20: D1050004 20000D30
	v_mul_f32_e64 v5, -v49, s6                                 // 000000006A28: D1050005 20000D31
	v_mul_f32_e64 v6, -v50, s6                                 // 000000006A30: D1050006 20000D32
	v_mul_f32_e64 v7, -v51, s6                                 // 000000006A38: D1050007 20000D33
	v_exp_f32_e32 v4, v4                                       // 000000006A40: 7E084104
	v_exp_f32_e32 v5, v5                                       // 000000006A44: 7E0A4105
	v_exp_f32_e32 v6, v6                                       // 000000006A48: 7E0C4106
	v_exp_f32_e32 v7, v7                                       // 000000006A4C: 7E0E4107
	v_add_f32_e64 v4, v4, 1.0                                  // 000000006A50: D1010004 0001E504
	v_add_f32_e64 v5, v5, 1.0                                  // 000000006A58: D1010005 0001E505
	v_add_f32_e64 v6, v6, 1.0                                  // 000000006A60: D1010006 0001E506
	v_add_f32_e64 v7, v7, 1.0                                  // 000000006A68: D1010007 0001E507
	v_rcp_f32_e32 v4, v4                                       // 000000006A70: 7E084504
	v_rcp_f32_e32 v5, v5                                       // 000000006A74: 7E0A4505
	v_rcp_f32_e32 v6, v6                                       // 000000006A78: 7E0C4506
	v_rcp_f32_e32 v7, v7                                       // 000000006A7C: 7E0E4507
	v_mul_f32_e32 v48, v48, v4                                 // 000000006A80: 0A600930
	v_mul_f32_e32 v49, v49, v5                                 // 000000006A84: 0A620B31
	v_mul_f32_e32 v50, v50, v6                                 // 000000006A88: 0A640D32
	v_mul_f32_e32 v51, v51, v7                                 // 000000006A8C: 0A660F33
	v_mul_f32_e32 v48, v48, v80                                // 000000006A90: 0A60A130
	v_mul_f32_e32 v49, v49, v81                                // 000000006A94: 0A62A331
	v_mul_f32_e32 v50, v50, v82                                // 000000006A98: 0A64A532
	v_mul_f32_e32 v51, v51, v83                                // 000000006A9C: 0A66A733
	v_mul_f32_e64 v4, -v52, s6                                 // 000000006AA0: D1050004 20000D34
	v_mul_f32_e64 v5, -v53, s6                                 // 000000006AA8: D1050005 20000D35
	v_mul_f32_e64 v6, -v54, s6                                 // 000000006AB0: D1050006 20000D36
	v_mul_f32_e64 v7, -v55, s6                                 // 000000006AB8: D1050007 20000D37
	v_exp_f32_e32 v4, v4                                       // 000000006AC0: 7E084104
	v_exp_f32_e32 v5, v5                                       // 000000006AC4: 7E0A4105
	v_exp_f32_e32 v6, v6                                       // 000000006AC8: 7E0C4106
	v_exp_f32_e32 v7, v7                                       // 000000006ACC: 7E0E4107
	v_add_f32_e64 v4, v4, 1.0                                  // 000000006AD0: D1010004 0001E504
	v_add_f32_e64 v5, v5, 1.0                                  // 000000006AD8: D1010005 0001E505
	v_add_f32_e64 v6, v6, 1.0                                  // 000000006AE0: D1010006 0001E506
	v_add_f32_e64 v7, v7, 1.0                                  // 000000006AE8: D1010007 0001E507
	v_rcp_f32_e32 v4, v4                                       // 000000006AF0: 7E084504
	v_rcp_f32_e32 v5, v5                                       // 000000006AF4: 7E0A4505
	v_rcp_f32_e32 v6, v6                                       // 000000006AF8: 7E0C4506
	v_rcp_f32_e32 v7, v7                                       // 000000006AFC: 7E0E4507
	v_mul_f32_e32 v52, v52, v4                                 // 000000006B00: 0A680934
	v_mul_f32_e32 v53, v53, v5                                 // 000000006B04: 0A6A0B35
	v_mul_f32_e32 v54, v54, v6                                 // 000000006B08: 0A6C0D36
	v_mul_f32_e32 v55, v55, v7                                 // 000000006B0C: 0A6E0F37
	v_mul_f32_e32 v52, v52, v84                                // 000000006B10: 0A68A934
	v_mul_f32_e32 v53, v53, v85                                // 000000006B14: 0A6AAB35
	v_mul_f32_e32 v54, v54, v86                                // 000000006B18: 0A6CAD36
	v_mul_f32_e32 v55, v55, v87                                // 000000006B1C: 0A6EAF37
	v_mul_f32_e64 v4, -v56, s6                                 // 000000006B20: D1050004 20000D38
	v_mul_f32_e64 v5, -v57, s6                                 // 000000006B28: D1050005 20000D39
	v_mul_f32_e64 v6, -v58, s6                                 // 000000006B30: D1050006 20000D3A
	v_mul_f32_e64 v7, -v59, s6                                 // 000000006B38: D1050007 20000D3B
	v_exp_f32_e32 v4, v4                                       // 000000006B40: 7E084104
	v_exp_f32_e32 v5, v5                                       // 000000006B44: 7E0A4105
	v_exp_f32_e32 v6, v6                                       // 000000006B48: 7E0C4106
	v_exp_f32_e32 v7, v7                                       // 000000006B4C: 7E0E4107
	v_add_f32_e64 v4, v4, 1.0                                  // 000000006B50: D1010004 0001E504
	v_add_f32_e64 v5, v5, 1.0                                  // 000000006B58: D1010005 0001E505
	v_add_f32_e64 v6, v6, 1.0                                  // 000000006B60: D1010006 0001E506
	v_add_f32_e64 v7, v7, 1.0                                  // 000000006B68: D1010007 0001E507
	v_rcp_f32_e32 v4, v4                                       // 000000006B70: 7E084504
	v_rcp_f32_e32 v5, v5                                       // 000000006B74: 7E0A4505
	v_rcp_f32_e32 v6, v6                                       // 000000006B78: 7E0C4506
	v_rcp_f32_e32 v7, v7                                       // 000000006B7C: 7E0E4507
	v_mul_f32_e32 v56, v56, v4                                 // 000000006B80: 0A700938
	v_mul_f32_e32 v57, v57, v5                                 // 000000006B84: 0A720B39
	v_mul_f32_e32 v58, v58, v6                                 // 000000006B88: 0A740D3A
	v_mul_f32_e32 v59, v59, v7                                 // 000000006B8C: 0A760F3B
	v_mul_f32_e32 v56, v56, v88                                // 000000006B90: 0A70B138
	v_mul_f32_e32 v57, v57, v89                                // 000000006B94: 0A72B339
	v_mul_f32_e32 v58, v58, v90                                // 000000006B98: 0A74B53A
	v_mul_f32_e32 v59, v59, v91                                // 000000006B9C: 0A76B73B
	v_mul_f32_e64 v4, -v60, s6                                 // 000000006BA0: D1050004 20000D3C
	v_mul_f32_e64 v5, -v61, s6                                 // 000000006BA8: D1050005 20000D3D
	v_mul_f32_e64 v6, -v62, s6                                 // 000000006BB0: D1050006 20000D3E
	v_mul_f32_e64 v7, -v63, s6                                 // 000000006BB8: D1050007 20000D3F
	v_exp_f32_e32 v4, v4                                       // 000000006BC0: 7E084104
	v_exp_f32_e32 v5, v5                                       // 000000006BC4: 7E0A4105
	v_exp_f32_e32 v6, v6                                       // 000000006BC8: 7E0C4106
	v_exp_f32_e32 v7, v7                                       // 000000006BCC: 7E0E4107
	v_add_f32_e64 v4, v4, 1.0                                  // 000000006BD0: D1010004 0001E504
	v_add_f32_e64 v5, v5, 1.0                                  // 000000006BD8: D1010005 0001E505
	v_add_f32_e64 v6, v6, 1.0                                  // 000000006BE0: D1010006 0001E506
	v_add_f32_e64 v7, v7, 1.0                                  // 000000006BE8: D1010007 0001E507
	v_rcp_f32_e32 v4, v4                                       // 000000006BF0: 7E084504
	v_rcp_f32_e32 v5, v5                                       // 000000006BF4: 7E0A4505
	v_rcp_f32_e32 v6, v6                                       // 000000006BF8: 7E0C4506
	v_rcp_f32_e32 v7, v7                                       // 000000006BFC: 7E0E4507
	v_mul_f32_e32 v60, v60, v4                                 // 000000006C00: 0A78093C
	v_mul_f32_e32 v61, v61, v5                                 // 000000006C04: 0A7A0B3D
	v_mul_f32_e32 v62, v62, v6                                 // 000000006C08: 0A7C0D3E
	v_mul_f32_e32 v63, v63, v7                                 // 000000006C0C: 0A7E0F3F
	v_mul_f32_e32 v60, v60, v92                                // 000000006C10: 0A78B93C
	v_mul_f32_e32 v61, v61, v93                                // 000000006C14: 0A7ABB3D
	v_mul_f32_e32 v62, v62, v94                                // 000000006C18: 0A7CBD3E
	v_mul_f32_e32 v63, v63, v95                                // 000000006C1C: 0A7EBF3F
	v_mul_f32_e64 v4, -v64, s6                                 // 000000006C20: D1050004 20000D40
	v_mul_f32_e64 v5, -v65, s6                                 // 000000006C28: D1050005 20000D41
	v_mul_f32_e64 v6, -v66, s6                                 // 000000006C30: D1050006 20000D42
	v_mul_f32_e64 v7, -v67, s6                                 // 000000006C38: D1050007 20000D43
	v_exp_f32_e32 v4, v4                                       // 000000006C40: 7E084104
	v_exp_f32_e32 v5, v5                                       // 000000006C44: 7E0A4105
	v_exp_f32_e32 v6, v6                                       // 000000006C48: 7E0C4106
	v_exp_f32_e32 v7, v7                                       // 000000006C4C: 7E0E4107
	v_add_f32_e64 v4, v4, 1.0                                  // 000000006C50: D1010004 0001E504
	v_add_f32_e64 v5, v5, 1.0                                  // 000000006C58: D1010005 0001E505
	v_add_f32_e64 v6, v6, 1.0                                  // 000000006C60: D1010006 0001E506
	v_add_f32_e64 v7, v7, 1.0                                  // 000000006C68: D1010007 0001E507
	v_rcp_f32_e32 v4, v4                                       // 000000006C70: 7E084504
	v_rcp_f32_e32 v5, v5                                       // 000000006C74: 7E0A4505
	v_rcp_f32_e32 v6, v6                                       // 000000006C78: 7E0C4506
	v_rcp_f32_e32 v7, v7                                       // 000000006C7C: 7E0E4507
	v_mul_f32_e32 v64, v64, v4                                 // 000000006C80: 0A800940
	v_mul_f32_e32 v65, v65, v5                                 // 000000006C84: 0A820B41
	v_mul_f32_e32 v66, v66, v6                                 // 000000006C88: 0A840D42
	v_mul_f32_e32 v67, v67, v7                                 // 000000006C8C: 0A860F43
	v_mul_f32_e32 v64, v64, v96                                // 000000006C90: 0A80C140
	v_mul_f32_e32 v65, v65, v97                                // 000000006C94: 0A82C341
	v_mul_f32_e32 v66, v66, v98                                // 000000006C98: 0A84C542
	v_mul_f32_e32 v67, v67, v99                                // 000000006C9C: 0A86C743
	v_mul_f32_e64 v4, -v68, s6                                 // 000000006CA0: D1050004 20000D44
	v_mul_f32_e64 v5, -v69, s6                                 // 000000006CA8: D1050005 20000D45
	v_mul_f32_e64 v6, -v70, s6                                 // 000000006CB0: D1050006 20000D46
	v_mul_f32_e64 v7, -v71, s6                                 // 000000006CB8: D1050007 20000D47
	v_exp_f32_e32 v4, v4                                       // 000000006CC0: 7E084104
	v_exp_f32_e32 v5, v5                                       // 000000006CC4: 7E0A4105
	v_exp_f32_e32 v6, v6                                       // 000000006CC8: 7E0C4106
	v_exp_f32_e32 v7, v7                                       // 000000006CCC: 7E0E4107
	v_add_f32_e64 v4, v4, 1.0                                  // 000000006CD0: D1010004 0001E504
	v_add_f32_e64 v5, v5, 1.0                                  // 000000006CD8: D1010005 0001E505
	v_add_f32_e64 v6, v6, 1.0                                  // 000000006CE0: D1010006 0001E506
	v_add_f32_e64 v7, v7, 1.0                                  // 000000006CE8: D1010007 0001E507
	v_rcp_f32_e32 v4, v4                                       // 000000006CF0: 7E084504
	v_rcp_f32_e32 v5, v5                                       // 000000006CF4: 7E0A4505
	v_rcp_f32_e32 v6, v6                                       // 000000006CF8: 7E0C4506
	v_rcp_f32_e32 v7, v7                                       // 000000006CFC: 7E0E4507
	v_mul_f32_e32 v68, v68, v4                                 // 000000006D00: 0A880944
	v_mul_f32_e32 v69, v69, v5                                 // 000000006D04: 0A8A0B45
	v_mul_f32_e32 v70, v70, v6                                 // 000000006D08: 0A8C0D46
	v_mul_f32_e32 v71, v71, v7                                 // 000000006D0C: 0A8E0F47
	v_mul_f32_e32 v68, v68, v100                               // 000000006D10: 0A88C944
	v_mul_f32_e32 v69, v69, v101                               // 000000006D14: 0A8ACB45
	v_mul_f32_e32 v70, v70, v102                               // 000000006D18: 0A8CCD46
	v_mul_f32_e32 v71, v71, v103                               // 000000006D1C: 0A8ECF47
	v_mul_f32_e64 v4, -v72, s6                                 // 000000006D20: D1050004 20000D48
	v_mul_f32_e64 v5, -v73, s6                                 // 000000006D28: D1050005 20000D49
	v_mul_f32_e64 v6, -v74, s6                                 // 000000006D30: D1050006 20000D4A
	v_mul_f32_e64 v7, -v75, s6                                 // 000000006D38: D1050007 20000D4B
	v_exp_f32_e32 v4, v4                                       // 000000006D40: 7E084104
	v_exp_f32_e32 v5, v5                                       // 000000006D44: 7E0A4105
	v_exp_f32_e32 v6, v6                                       // 000000006D48: 7E0C4106
	v_exp_f32_e32 v7, v7                                       // 000000006D4C: 7E0E4107
	v_add_f32_e64 v4, v4, 1.0                                  // 000000006D50: D1010004 0001E504
	v_add_f32_e64 v5, v5, 1.0                                  // 000000006D58: D1010005 0001E505
	v_add_f32_e64 v6, v6, 1.0                                  // 000000006D60: D1010006 0001E506
	v_add_f32_e64 v7, v7, 1.0                                  // 000000006D68: D1010007 0001E507
	v_rcp_f32_e32 v4, v4                                       // 000000006D70: 7E084504
	v_rcp_f32_e32 v5, v5                                       // 000000006D74: 7E0A4505
	v_rcp_f32_e32 v6, v6                                       // 000000006D78: 7E0C4506
	v_rcp_f32_e32 v7, v7                                       // 000000006D7C: 7E0E4507
	v_mul_f32_e32 v72, v72, v4                                 // 000000006D80: 0A900948
	v_mul_f32_e32 v73, v73, v5                                 // 000000006D84: 0A920B49
	v_mul_f32_e32 v74, v74, v6                                 // 000000006D88: 0A940D4A
	v_mul_f32_e32 v75, v75, v7                                 // 000000006D8C: 0A960F4B
	v_mul_f32_e32 v72, v72, v104                               // 000000006D90: 0A90D148
	v_mul_f32_e32 v73, v73, v105                               // 000000006D94: 0A92D349
	v_mul_f32_e32 v74, v74, v106                               // 000000006D98: 0A94D54A
	v_mul_f32_e32 v75, v75, v107                               // 000000006D9C: 0A96D74B

0000000000006da0 <label_10EB>:
	s_cmp_eq_u32 s7, 0                                         // 000000006DA0: BF068007
	s_cbranch_scc0 label_10F2                                  // 000000006DA4: BF840005
	v_and_b32_e32 v4, 15, v0                                   // 000000006DA8: 2608008F
	v_lshlrev_b32_e32 v4, 2, v4                                // 000000006DAC: 24080882
	buffer_load_dword v28, v4, s[12:15], 0 offen               // 000000006DB0: E0501000 80031C04
	v_add_u32_e32 v4, 64, v4                                   // 000000006DB8: 680808C0

0000000000006dbc <label_10F2>:
	v_lshlrev_b32_e32 v4, 2, v0                                // 000000006DBC: 24080082
	s_mul_i32 s60, 0x100, s7                                   // 000000006DC0: 923C07FF 00000100
	v_add_u32_e32 v80, s60, v4                                 // 000000006DC8: 68A0083C
	v_and_b32_e32 v4, 15, v0                                   // 000000006DCC: 2608008F
	v_lshlrev_b32_e32 v81, 2, v4                               // 000000006DD0: 24A20882
	s_waitcnt lgkmcnt(0)                                       // 000000006DD4: BF8CC07F
	s_barrier                                                  // 000000006DD8: BF8A0000
	v_mov_b32_e32 v76, 0x358637bd                              // 000000006DDC: 7E9802FF 358637BD
	v_max3_f32 v76, |v44|, |v45|, v76                          // 000000006DE4: D1D3034C 05325B2C
	v_max3_f32 v76, |v46|, |v47|, v76                          // 000000006DEC: D1D3034C 05325F2E
	v_max3_f32 v76, |v48|, |v49|, v76                          // 000000006DF4: D1D3034C 05326330
	v_max3_f32 v76, |v50|, |v51|, v76                          // 000000006DFC: D1D3034C 05326732
	ds_write_b32 v80, v76                                      // 000000006E04: D81A0000 00004C50
	s_waitcnt lgkmcnt(0)                                       // 000000006E0C: BF8CC07F
	s_barrier                                                  // 000000006E10: BF8A0000
	ds_read_b32 v4, v81                                        // 000000006E14: D86C0000 04000051
	ds_read_b32 v5, v81 offset:64                              // 000000006E1C: D86C0040 05000051
	ds_read_b32 v6, v81 offset:128                             // 000000006E24: D86C0080 06000051
	ds_read_b32 v7, v81 offset:192                             // 000000006E2C: D86C00C0 07000051
	ds_read_b32 v8, v81 offset:256                             // 000000006E34: D86C0100 08000051
	ds_read_b32 v9, v81 offset:320                             // 000000006E3C: D86C0140 09000051
	ds_read_b32 v10, v81 offset:384                            // 000000006E44: D86C0180 0A000051
	ds_read_b32 v11, v81 offset:448                            // 000000006E4C: D86C01C0 0B000051
	ds_read_b32 v12, v81 offset:512                            // 000000006E54: D86C0200 0C000051
	ds_read_b32 v13, v81 offset:576                            // 000000006E5C: D86C0240 0D000051
	ds_read_b32 v14, v81 offset:640                            // 000000006E64: D86C0280 0E000051
	ds_read_b32 v15, v81 offset:704                            // 000000006E6C: D86C02C0 0F000051
	ds_read_b32 v16, v81 offset:768                            // 000000006E74: D86C0300 10000051
	ds_read_b32 v17, v81 offset:832                            // 000000006E7C: D86C0340 11000051
	ds_read_b32 v18, v81 offset:896                            // 000000006E84: D86C0380 12000051
	ds_read_b32 v19, v81 offset:960                            // 000000006E8C: D86C03C0 13000051
	s_waitcnt lgkmcnt(0)                                       // 000000006E94: BF8CC07F
	s_barrier                                                  // 000000006E98: BF8A0000
	v_max3_f32 v76, |v4|, |v5|, v76                            // 000000006E9C: D1D3034C 05320B04
	v_max3_f32 v76, |v6|, |v7|, v76                            // 000000006EA4: D1D3034C 05320F06
	v_max3_f32 v76, |v8|, |v9|, v76                            // 000000006EAC: D1D3034C 05321308
	v_max3_f32 v76, |v10|, |v11|, v76                          // 000000006EB4: D1D3034C 0532170A
	v_max3_f32 v76, |v12|, |v13|, v76                          // 000000006EBC: D1D3034C 05321B0C
	v_max3_f32 v76, |v14|, |v15|, v76                          // 000000006EC4: D1D3034C 05321F0E
	v_max3_f32 v76, |v16|, |v17|, v76                          // 000000006ECC: D1D3034C 05322310
	v_max3_f32 v76, |v18|, |v19|, v76                          // 000000006ED4: D1D3034C 05322712
	v_rcp_f32_e32 v76, v76                                     // 000000006EDC: 7E98454C
	v_mov_b32_e32 v4, 0x43700000                               // 000000006EE0: 7E0802FF 43700000
	v_mul_f32_e32 v76, v4, v76                                 // 000000006EE8: 0A989904
	v_mov_b32_e32 v4, v76                                      // 000000006EEC: 7E08034C
	v_mov_b32_e32 v5, v4                                       // 000000006EF0: 7E0A0304
	v_pk_mul_f32 v[44:45], v[4:5], v[44:45]                    // 000000006EF4: D3B1402C 18025904
	v_pk_mul_f32 v[46:47], v[4:5], v[46:47]                    // 000000006EFC: D3B1402E 18025D04
	v_cvt_pk_fp8_f32 v44, v44, v45                             // 000000006F04: D2A2002C 00025B2C
	v_cvt_pk_fp8_f32 v44, v46, v47 op_sel:[0,0,1]              // 000000006F0C: D2A2402C 00025F2E
	v_pk_mul_f32 v[48:49], v[4:5], v[48:49]                    // 000000006F14: D3B14030 18026104
	v_pk_mul_f32 v[50:51], v[4:5], v[50:51]                    // 000000006F1C: D3B14032 18026504
	v_cvt_pk_fp8_f32 v48, v48, v49                             // 000000006F24: D2A20030 00026330
	v_cvt_pk_fp8_f32 v48, v50, v51 op_sel:[0,0,1]              // 000000006F2C: D2A24030 00026732
	v_rcp_f32_e32 v76, v76                                     // 000000006F34: 7E98454C
	v_mov_b32_e32 v77, 0x358637bd                              // 000000006F38: 7E9A02FF 358637BD
	v_max3_f32 v77, |v52|, |v53|, v77                          // 000000006F40: D1D3034D 05366B34
	v_max3_f32 v77, |v54|, |v55|, v77                          // 000000006F48: D1D3034D 05366F36
	v_max3_f32 v77, |v56|, |v57|, v77                          // 000000006F50: D1D3034D 05367338
	v_max3_f32 v77, |v58|, |v59|, v77                          // 000000006F58: D1D3034D 0536773A
	ds_write_b32 v80, v77                                      // 000000006F60: D81A0000 00004D50
	s_waitcnt lgkmcnt(0)                                       // 000000006F68: BF8CC07F
	s_barrier                                                  // 000000006F6C: BF8A0000
	ds_read_b32 v4, v81                                        // 000000006F70: D86C0000 04000051
	ds_read_b32 v5, v81 offset:64                              // 000000006F78: D86C0040 05000051
	ds_read_b32 v6, v81 offset:128                             // 000000006F80: D86C0080 06000051
	ds_read_b32 v7, v81 offset:192                             // 000000006F88: D86C00C0 07000051
	ds_read_b32 v8, v81 offset:256                             // 000000006F90: D86C0100 08000051
	ds_read_b32 v9, v81 offset:320                             // 000000006F98: D86C0140 09000051
	ds_read_b32 v10, v81 offset:384                            // 000000006FA0: D86C0180 0A000051
	ds_read_b32 v11, v81 offset:448                            // 000000006FA8: D86C01C0 0B000051
	ds_read_b32 v12, v81 offset:512                            // 000000006FB0: D86C0200 0C000051
	ds_read_b32 v13, v81 offset:576                            // 000000006FB8: D86C0240 0D000051
	ds_read_b32 v14, v81 offset:640                            // 000000006FC0: D86C0280 0E000051
	ds_read_b32 v15, v81 offset:704                            // 000000006FC8: D86C02C0 0F000051
	ds_read_b32 v16, v81 offset:768                            // 000000006FD0: D86C0300 10000051
	ds_read_b32 v17, v81 offset:832                            // 000000006FD8: D86C0340 11000051
	ds_read_b32 v18, v81 offset:896                            // 000000006FE0: D86C0380 12000051
	ds_read_b32 v19, v81 offset:960                            // 000000006FE8: D86C03C0 13000051
	s_waitcnt lgkmcnt(0)                                       // 000000006FF0: BF8CC07F
	s_barrier                                                  // 000000006FF4: BF8A0000
	v_max3_f32 v77, |v4|, |v5|, v77                            // 000000006FF8: D1D3034D 05360B04
	v_max3_f32 v77, |v6|, |v7|, v77                            // 000000007000: D1D3034D 05360F06
	v_max3_f32 v77, |v8|, |v9|, v77                            // 000000007008: D1D3034D 05361308
	v_max3_f32 v77, |v10|, |v11|, v77                          // 000000007010: D1D3034D 0536170A
	v_max3_f32 v77, |v12|, |v13|, v77                          // 000000007018: D1D3034D 05361B0C
	v_max3_f32 v77, |v14|, |v15|, v77                          // 000000007020: D1D3034D 05361F0E
	v_max3_f32 v77, |v16|, |v17|, v77                          // 000000007028: D1D3034D 05362310
	v_max3_f32 v77, |v18|, |v19|, v77                          // 000000007030: D1D3034D 05362712
	v_rcp_f32_e32 v77, v77                                     // 000000007038: 7E9A454D
	v_mov_b32_e32 v4, 0x43700000                               // 00000000703C: 7E0802FF 43700000
	v_mul_f32_e32 v77, v4, v77                                 // 000000007044: 0A9A9B04
	v_mov_b32_e32 v4, v77                                      // 000000007048: 7E08034D
	v_mov_b32_e32 v5, v4                                       // 00000000704C: 7E0A0304
	v_pk_mul_f32 v[52:53], v[4:5], v[52:53]                    // 000000007050: D3B14034 18026904
	v_pk_mul_f32 v[54:55], v[4:5], v[54:55]                    // 000000007058: D3B14036 18026D04
	v_cvt_pk_fp8_f32 v52, v52, v53                             // 000000007060: D2A20034 00026B34
	v_cvt_pk_fp8_f32 v52, v54, v55 op_sel:[0,0,1]              // 000000007068: D2A24034 00026F36
	v_pk_mul_f32 v[56:57], v[4:5], v[56:57]                    // 000000007070: D3B14038 18027104
	v_pk_mul_f32 v[58:59], v[4:5], v[58:59]                    // 000000007078: D3B1403A 18027504
	v_cvt_pk_fp8_f32 v56, v56, v57                             // 000000007080: D2A20038 00027338
	v_cvt_pk_fp8_f32 v56, v58, v59 op_sel:[0,0,1]              // 000000007088: D2A24038 0002773A
	v_rcp_f32_e32 v77, v77                                     // 000000007090: 7E9A454D
	v_mov_b32_e32 v78, 0x358637bd                              // 000000007094: 7E9C02FF 358637BD
	v_max3_f32 v78, |v60|, |v61|, v78                          // 00000000709C: D1D3034E 053A7B3C
	v_max3_f32 v78, |v62|, |v63|, v78                          // 0000000070A4: D1D3034E 053A7F3E
	v_max3_f32 v78, |v64|, |v65|, v78                          // 0000000070AC: D1D3034E 053A8340
	v_max3_f32 v78, |v66|, |v67|, v78                          // 0000000070B4: D1D3034E 053A8742
	ds_write_b32 v80, v78                                      // 0000000070BC: D81A0000 00004E50
	s_waitcnt lgkmcnt(0)                                       // 0000000070C4: BF8CC07F
	s_barrier                                                  // 0000000070C8: BF8A0000
	ds_read_b32 v4, v81                                        // 0000000070CC: D86C0000 04000051
	ds_read_b32 v5, v81 offset:64                              // 0000000070D4: D86C0040 05000051
	ds_read_b32 v6, v81 offset:128                             // 0000000070DC: D86C0080 06000051
	ds_read_b32 v7, v81 offset:192                             // 0000000070E4: D86C00C0 07000051
	ds_read_b32 v8, v81 offset:256                             // 0000000070EC: D86C0100 08000051
	ds_read_b32 v9, v81 offset:320                             // 0000000070F4: D86C0140 09000051
	ds_read_b32 v10, v81 offset:384                            // 0000000070FC: D86C0180 0A000051
	ds_read_b32 v11, v81 offset:448                            // 000000007104: D86C01C0 0B000051
	ds_read_b32 v12, v81 offset:512                            // 00000000710C: D86C0200 0C000051
	ds_read_b32 v13, v81 offset:576                            // 000000007114: D86C0240 0D000051
	ds_read_b32 v14, v81 offset:640                            // 00000000711C: D86C0280 0E000051
	ds_read_b32 v15, v81 offset:704                            // 000000007124: D86C02C0 0F000051
	ds_read_b32 v16, v81 offset:768                            // 00000000712C: D86C0300 10000051
	ds_read_b32 v17, v81 offset:832                            // 000000007134: D86C0340 11000051
	ds_read_b32 v18, v81 offset:896                            // 00000000713C: D86C0380 12000051
	ds_read_b32 v19, v81 offset:960                            // 000000007144: D86C03C0 13000051
	s_waitcnt lgkmcnt(0)                                       // 00000000714C: BF8CC07F
	s_barrier                                                  // 000000007150: BF8A0000
	v_max3_f32 v78, |v4|, |v5|, v78                            // 000000007154: D1D3034E 053A0B04
	v_max3_f32 v78, |v6|, |v7|, v78                            // 00000000715C: D1D3034E 053A0F06
	v_max3_f32 v78, |v8|, |v9|, v78                            // 000000007164: D1D3034E 053A1308
	v_max3_f32 v78, |v10|, |v11|, v78                          // 00000000716C: D1D3034E 053A170A
	v_max3_f32 v78, |v12|, |v13|, v78                          // 000000007174: D1D3034E 053A1B0C
	v_max3_f32 v78, |v14|, |v15|, v78                          // 00000000717C: D1D3034E 053A1F0E
	v_max3_f32 v78, |v16|, |v17|, v78                          // 000000007184: D1D3034E 053A2310
	v_max3_f32 v78, |v18|, |v19|, v78                          // 00000000718C: D1D3034E 053A2712
	v_rcp_f32_e32 v78, v78                                     // 000000007194: 7E9C454E
	v_mov_b32_e32 v4, 0x43700000                               // 000000007198: 7E0802FF 43700000
	v_mul_f32_e32 v78, v4, v78                                 // 0000000071A0: 0A9C9D04
	v_mov_b32_e32 v4, v78                                      // 0000000071A4: 7E08034E
	v_mov_b32_e32 v5, v4                                       // 0000000071A8: 7E0A0304
	v_pk_mul_f32 v[60:61], v[4:5], v[60:61]                    // 0000000071AC: D3B1403C 18027904
	v_pk_mul_f32 v[62:63], v[4:5], v[62:63]                    // 0000000071B4: D3B1403E 18027D04
	v_cvt_pk_fp8_f32 v60, v60, v61                             // 0000000071BC: D2A2003C 00027B3C
	v_cvt_pk_fp8_f32 v60, v62, v63 op_sel:[0,0,1]              // 0000000071C4: D2A2403C 00027F3E
	v_pk_mul_f32 v[64:65], v[4:5], v[64:65]                    // 0000000071CC: D3B14040 18028104
	v_pk_mul_f32 v[66:67], v[4:5], v[66:67]                    // 0000000071D4: D3B14042 18028504
	v_cvt_pk_fp8_f32 v64, v64, v65                             // 0000000071DC: D2A20040 00028340
	v_cvt_pk_fp8_f32 v64, v66, v67 op_sel:[0,0,1]              // 0000000071E4: D2A24040 00028742
	v_rcp_f32_e32 v78, v78                                     // 0000000071EC: 7E9C454E
	v_mov_b32_e32 v79, 0x358637bd                              // 0000000071F0: 7E9E02FF 358637BD
	v_max3_f32 v79, |v68|, |v69|, v79                          // 0000000071F8: D1D3034F 053E8B44
	v_max3_f32 v79, |v70|, |v71|, v79                          // 000000007200: D1D3034F 053E8F46
	v_max3_f32 v79, |v72|, |v73|, v79                          // 000000007208: D1D3034F 053E9348
	v_max3_f32 v79, |v74|, |v75|, v79                          // 000000007210: D1D3034F 053E974A
	ds_write_b32 v80, v79                                      // 000000007218: D81A0000 00004F50
	s_waitcnt lgkmcnt(0)                                       // 000000007220: BF8CC07F
	s_barrier                                                  // 000000007224: BF8A0000
	ds_read_b32 v4, v81                                        // 000000007228: D86C0000 04000051
	ds_read_b32 v5, v81 offset:64                              // 000000007230: D86C0040 05000051
	ds_read_b32 v6, v81 offset:128                             // 000000007238: D86C0080 06000051
	ds_read_b32 v7, v81 offset:192                             // 000000007240: D86C00C0 07000051
	ds_read_b32 v8, v81 offset:256                             // 000000007248: D86C0100 08000051
	ds_read_b32 v9, v81 offset:320                             // 000000007250: D86C0140 09000051
	ds_read_b32 v10, v81 offset:384                            // 000000007258: D86C0180 0A000051
	ds_read_b32 v11, v81 offset:448                            // 000000007260: D86C01C0 0B000051
	ds_read_b32 v12, v81 offset:512                            // 000000007268: D86C0200 0C000051
	ds_read_b32 v13, v81 offset:576                            // 000000007270: D86C0240 0D000051
	ds_read_b32 v14, v81 offset:640                            // 000000007278: D86C0280 0E000051
	ds_read_b32 v15, v81 offset:704                            // 000000007280: D86C02C0 0F000051
	ds_read_b32 v16, v81 offset:768                            // 000000007288: D86C0300 10000051
	ds_read_b32 v17, v81 offset:832                            // 000000007290: D86C0340 11000051
	ds_read_b32 v18, v81 offset:896                            // 000000007298: D86C0380 12000051
	ds_read_b32 v19, v81 offset:960                            // 0000000072A0: D86C03C0 13000051
	s_waitcnt lgkmcnt(0)                                       // 0000000072A8: BF8CC07F
	s_barrier                                                  // 0000000072AC: BF8A0000
	v_max3_f32 v79, |v4|, |v5|, v79                            // 0000000072B0: D1D3034F 053E0B04
	v_max3_f32 v79, |v6|, |v7|, v79                            // 0000000072B8: D1D3034F 053E0F06
	v_max3_f32 v79, |v8|, |v9|, v79                            // 0000000072C0: D1D3034F 053E1308
	v_max3_f32 v79, |v10|, |v11|, v79                          // 0000000072C8: D1D3034F 053E170A
	v_max3_f32 v79, |v12|, |v13|, v79                          // 0000000072D0: D1D3034F 053E1B0C
	v_max3_f32 v79, |v14|, |v15|, v79                          // 0000000072D8: D1D3034F 053E1F0E
	v_max3_f32 v79, |v16|, |v17|, v79                          // 0000000072E0: D1D3034F 053E2310
	v_max3_f32 v79, |v18|, |v19|, v79                          // 0000000072E8: D1D3034F 053E2712
	v_rcp_f32_e32 v79, v79                                     // 0000000072F0: 7E9E454F
	v_mov_b32_e32 v4, 0x43700000                               // 0000000072F4: 7E0802FF 43700000
	v_mul_f32_e32 v79, v4, v79                                 // 0000000072FC: 0A9E9F04
	v_mov_b32_e32 v4, v79                                      // 000000007300: 7E08034F
	v_mov_b32_e32 v5, v4                                       // 000000007304: 7E0A0304
	v_pk_mul_f32 v[68:69], v[4:5], v[68:69]                    // 000000007308: D3B14044 18028904
	v_pk_mul_f32 v[70:71], v[4:5], v[70:71]                    // 000000007310: D3B14046 18028D04
	v_cvt_pk_fp8_f32 v68, v68, v69                             // 000000007318: D2A20044 00028B44
	v_cvt_pk_fp8_f32 v68, v70, v71 op_sel:[0,0,1]              // 000000007320: D2A24044 00028F46
	v_pk_mul_f32 v[72:73], v[4:5], v[72:73]                    // 000000007328: D3B14048 18029104
	v_pk_mul_f32 v[74:75], v[4:5], v[74:75]                    // 000000007330: D3B1404A 18029504
	v_cvt_pk_fp8_f32 v72, v72, v73                             // 000000007338: D2A20048 00029348
	v_cvt_pk_fp8_f32 v72, v74, v75 op_sel:[0,0,1]              // 000000007340: D2A24048 0002974A
	v_rcp_f32_e32 v79, v79                                     // 000000007348: 7E9E454F
	v_lshrrev_b32_e32 v4, 5, v0                                // 00000000734C: 20080085
	v_mul_lo_u32 v20, 34, v4                                   // 000000007350: D2850014 000208A2
	v_and_b32_e32 v4, 31, v0                                   // 000000007358: 2608009F
	v_lshrrev_b32_e32 v5, 4, v4                                // 00000000735C: 200A0884
	v_add_u32_e32 v20, v5, v20                                 // 000000007360: 68282905
	v_and_b32_e32 v4, 15, v0                                   // 000000007364: 2608008F
	v_mul_lo_u32 v5, 2, v4                                     // 000000007368: D2850005 00020882
	v_add_u32_e32 v20, v5, v20                                 // 000000007370: 68282905
	s_mul_i32 s60, s7, 0x44                                    // 000000007374: 923CFF07 00000044
	v_add_u32_e32 v20, s60, v20                                // 00000000737C: 6828283C
	v_lshlrev_b32_e32 v20, 2, v20                              // 000000007380: 24282882
	ds_write_b32 v20, v44                                      // 000000007384: D81A0000 00002C14
	ds_write_b32 v20, v48 offset:1088                          // 00000000738C: D81A0440 00003014
	ds_write_b32 v20, v52 offset:2176                          // 000000007394: D81A0880 00003414
	ds_write_b32 v20, v56 offset:3264                          // 00000000739C: D81A0CC0 00003814
	ds_write_b32 v20, v60 offset:4352                          // 0000000073A4: D81A1100 00003C14
	ds_write_b32 v20, v64 offset:5440                          // 0000000073AC: D81A1540 00004014
	ds_write_b32 v20, v68 offset:6528                          // 0000000073B4: D81A1980 00004414
	ds_write_b32 v20, v72 offset:7616                          // 0000000073BC: D81A1DC0 00004814
	v_lshrrev_b32_e32 v4, 5, v0                                // 0000000073C4: 20080085
	v_xor_b32_e32 v5, 1, v4                                    // 0000000073C8: 2A0A0881
	s_mul_i32 s60, s65, 1                                      // 0000000073CC: 923C8141
	s_cmp_eq_u32 s88, 0                                        // 0000000073D0: BF068058
	s_cselect_b32 s61, 1, 8                                    // 0000000073D4: 853D8881
	s_mul_i32 s60, s61, s60                                    // 0000000073D8: 923C3C3D
	v_readlane_b32 s82, v3, 0                                  // 0000000073DC: D2890052 00010103
	s_lshr_b32 s61, s82, 24                                    // 0000000073E4: 8F3D9852
	s_and_b32 s82, s82, 0xffffff                               // 0000000073E8: 8652FF52 00FFFFFF
	s_mul_i32 s82, s82, s71                                    // 0000000073F0: 92524752
	s_mul_i32 s61, s60, s61                                    // 0000000073F4: 923D3D3C
	s_add_u32 s82, s82, s61                                    // 0000000073F8: 80523D52
	v_mul_lo_u32 v6, v5, s82                                   // 0000000073FC: D2850006 0000A505
	v_readlane_b32 s82, v3, 1                                  // 000000007404: D2890052 00010303
	s_lshr_b32 s61, s82, 24                                    // 00000000740C: 8F3D9852
	s_and_b32 s82, s82, 0xffffff                               // 000000007410: 8652FF52 00FFFFFF
	s_mul_i32 s82, s82, s71                                    // 000000007418: 92524752
	s_mul_i32 s61, s60, s61                                    // 00000000741C: 923D3D3C
	s_add_u32 s82, s82, s61                                    // 000000007420: 80523D52
	v_mul_lo_u32 v7, v4, s82                                   // 000000007424: D2850007 0000A504
	v_add_u32_e32 v32, v6, v7                                  // 00000000742C: 68400F06
	v_readlane_b32 s82, v3, 2                                  // 000000007430: D2890052 00010503
	s_lshr_b32 s61, s82, 24                                    // 000000007438: 8F3D9852
	s_and_b32 s82, s82, 0xffffff                               // 00000000743C: 8652FF52 00FFFFFF
	s_mul_i32 s82, s82, s71                                    // 000000007444: 92524752
	s_mul_i32 s61, s60, s61                                    // 000000007448: 923D3D3C
	s_add_u32 s82, s82, s61                                    // 00000000744C: 80523D52
	v_mul_lo_u32 v6, v5, s82                                   // 000000007450: D2850006 0000A505
	v_readlane_b32 s82, v3, 3                                  // 000000007458: D2890052 00010703
	s_lshr_b32 s61, s82, 24                                    // 000000007460: 8F3D9852
	s_and_b32 s82, s82, 0xffffff                               // 000000007464: 8652FF52 00FFFFFF
	s_mul_i32 s82, s82, s71                                    // 00000000746C: 92524752
	s_mul_i32 s61, s60, s61                                    // 000000007470: 923D3D3C
	s_add_u32 s82, s82, s61                                    // 000000007474: 80523D52
	v_mul_lo_u32 v7, v4, s82                                   // 000000007478: D2850007 0000A504
	v_add_u32_e32 v33, v6, v7                                  // 000000007480: 68420F06
	v_and_b32_e32 v4, 31, v0                                   // 000000007484: 2608009F
	v_lshrrev_b32_e32 v4, 1, v4                                // 000000007488: 20080881
	s_cmp_eq_u32 s88, 0                                        // 00000000748C: BF068058
	s_cselect_b32 s61, 2, 4                                    // 000000007490: 853D8482
	v_mul_lo_u32 v4, v4, s61                                   // 000000007494: D2850004 00007B04
	v_and_b32_e64 v5, v0, 1                                    // 00000000749C: D1130005 00010300
	v_add_u32_e32 v4, v4, v5                                   // 0000000074A4: 68080B04
	v_lshlrev_b32_e32 v4, 2, v4                                // 0000000074A8: 24080882
	v_add_u32_e32 v32, v32, v4                                 // 0000000074AC: 68400920
	v_add_u32_e32 v33, v33, v4                                 // 0000000074B0: 68420921
	s_waitcnt lgkmcnt(0)                                       // 0000000074B4: BF8CC07F
	s_barrier                                                  // 0000000074B8: BF8A0000
	ds_read_b32 v44, v21                                       // 0000000074BC: D86C0000 2C000015
	ds_read_b32 v45, v21 offset:64                             // 0000000074C4: D86C0040 2D000015
	ds_read_b32 v46, v21 offset:2176                           // 0000000074CC: D86C0880 2E000015
	ds_read_b32 v47, v21 offset:2240                           // 0000000074D4: D86C08C0 2F000015
	ds_read_b32 v48, v21 offset:4352                           // 0000000074DC: D86C1100 30000015
	ds_read_b32 v49, v21 offset:4416                           // 0000000074E4: D86C1140 31000015
	ds_read_b32 v50, v21 offset:6528                           // 0000000074EC: D86C1980 32000015
	ds_read_b32 v51, v21 offset:6592                           // 0000000074F4: D86C19C0 33000015
	s_waitcnt lgkmcnt(0)                                       // 0000000074FC: BF8CC07F
	s_mov_b32 s36, -1                                          // 000000007500: BEA400C1
	s_mov_b32 s37, -1                                          // 000000007504: BEA500C1
	v_mov_b32_e32 v7, 0                                        // 000000007508: 7E0E0280
	s_or_b32 s9, s9, 0x40000                                   // 00000000750C: 8709FF09 00040000
	s_mov_b64 exec, s[36:37]                                   // 000000007514: BEFE0124
	v_mov_b32_e32 v6, v32                                      // 000000007518: 7E0C0320
	s_mov_b64 s[60:61], 0                                      // 00000000751C: BEBC0180
	v_readlane_b32 s82, v3, 0                                  // 000000007520: D2890052 00010103
	s_and_b32 s82, s82, 0xffffff                               // 000000007528: 8652FF52 00FFFFFF
	s_cmp_lt_u32 s82, s66                                      // 000000007530: BF0A4252
	s_cselect_b32 s20, s36, s60                                // 000000007534: 85143C24
	v_readlane_b32 s82, v3, 1                                  // 000000007538: D2890052 00010303
	s_and_b32 s82, s82, 0xffffff                               // 000000007540: 8652FF52 00FFFFFF
	s_cmp_lt_u32 s82, s66                                      // 000000007548: BF0A4252
	s_cselect_b32 s21, s36, s60                                // 00000000754C: 85153C24
	s_mov_b64 exec, s[20:21]                                   // 000000007550: BEFE0114
	buffer_store_dword v44, v6, s[8:11], 0 offen               // 000000007554: E0701000 80022C06
	buffer_store_dword v46, v6, s[8:11], 0 offen offset:128    // 00000000755C: E0701080 80022E06
	buffer_store_dword v48, v6, s[8:11], 0 offen offset:256    // 000000007564: E0701100 80023006
	buffer_store_dword v50, v6, s[8:11], 0 offen offset:384    // 00000000756C: E0701180 80023206
	s_mov_b64 exec, s[36:37]                                   // 000000007574: BEFE0124
	v_mov_b32_e32 v6, v33                                      // 000000007578: 7E0C0321
	s_mov_b64 s[60:61], 0                                      // 00000000757C: BEBC0180
	v_readlane_b32 s82, v3, 2                                  // 000000007580: D2890052 00010503
	s_and_b32 s82, s82, 0xffffff                               // 000000007588: 8652FF52 00FFFFFF
	s_cmp_lt_u32 s82, s66                                      // 000000007590: BF0A4252
	s_cselect_b32 s20, s36, s60                                // 000000007594: 85143C24
	v_readlane_b32 s82, v3, 3                                  // 000000007598: D2890052 00010703
	s_and_b32 s82, s82, 0xffffff                               // 0000000075A0: 8652FF52 00FFFFFF
	s_cmp_lt_u32 s82, s66                                      // 0000000075A8: BF0A4252
	s_cselect_b32 s21, s36, s60                                // 0000000075AC: 85153C24
	s_mov_b64 exec, s[20:21]                                   // 0000000075B0: BEFE0114
	buffer_store_dword v45, v6, s[8:11], 0 offen               // 0000000075B4: E0701000 80022D06
	buffer_store_dword v47, v6, s[8:11], 0 offen offset:128    // 0000000075BC: E0701080 80022F06
	buffer_store_dword v49, v6, s[8:11], 0 offen offset:256    // 0000000075C4: E0701100 80023106
	buffer_store_dword v51, v6, s[8:11], 0 offen offset:384    // 0000000075CC: E0701180 80023306
	s_mov_b64 exec, s[36:37]                                   // 0000000075D4: BEFE0124
	s_cmp_eq_u32 s7, 0                                         // 0000000075D8: BF068007
	s_cbranch_scc0 label_1531                                  // 0000000075DC: BF840236
	s_waitcnt vmcnt(8)                                         // 0000000075E0: BF8C0F78
	s_mov_b32 s8, s90                                          // 0000000075E4: BE88005A
	s_mov_b32 s9, s91                                          // 0000000075E8: BE89005B
	s_mul_i32 s60, s66, s71                                    // 0000000075EC: 923C4742
	s_add_u32 s8, s60, s8                                      // 0000000075F0: 8008083C
	s_addc_u32 s9, 0, s9                                       // 0000000075F4: 82090980
	s_lshr_b32 s71, s71, 5                                     // 0000000075F8: 8F478547
	s_mul_i32 s60, s66, s71                                    // 0000000075FC: 923C4742
	s_mov_b32 s10, s60                                         // 000000007600: BE8A003C
	s_lshr_b32 s61, s65, 5                                     // 000000007604: 8F3D8541
	s_mul_i32 s60, s2, 16                                      // 000000007608: 923C9002
	v_lshrrev_b32_e32 v4, 24, v28                              // 00000000760C: 20083898
	v_mul_lo_u32 v4, s61, v4                                   // 000000007610: D2850004 0002083D
	v_and_b32_e32 v28, 0xffffff, v28                           // 000000007618: 263838FF 00FFFFFF
	v_mul_lo_u32 v28, s71, v28                                 // 000000007620: D285001C 00023847
	v_add_u32_e32 v28, v4, v28                                 // 000000007628: 68383904
	v_add_u32_e32 v28, s60, v28                                // 00000000762C: 6838383C
	s_mov_b64 exec, 0xffff                                     // 000000007630: BEFE01FF 0000FFFF
	buffer_store_dword v76, v28, s[8:11], 0 offen              // 000000007638: E0701000 80024C1C
	buffer_store_dword v77, v28, s[8:11], 0 offen offset:4     // 000000007640: E0701004 80024D1C
	buffer_store_dword v78, v28, s[8:11], 0 offen offset:8     // 000000007648: E0701008 80024E1C
	buffer_store_dword v79, v28, s[8:11], 0 offen offset:12    // 000000007650: E070100C 80024F1C
	s_mov_b64 exec, s[36:37]                                   // 000000007658: BEFE0124
	s_branch label_1531                                        // 00000000765C: BF820216

0000000000007660 <label_131B>:
	ds_write_b64 v20, v[44:45]                                 // 000000007660: D89A0000 00002C14
	ds_write_b64 v20, v[48:49] offset:2176                     // 000000007668: D89A0880 00003014
	ds_write_b64 v20, v[52:53] offset:4352                     // 000000007670: D89A1100 00003414
	ds_write_b64 v20, v[56:57] offset:6528                     // 000000007678: D89A1980 00003814
	ds_write_b64 v20, v[60:61] offset:8704                     // 000000007680: D89A2200 00003C14
	ds_write_b64 v20, v[64:65] offset:10880                    // 000000007688: D89A2A80 00004014
	ds_write_b64 v20, v[68:69] offset:13056                    // 000000007690: D89A3300 00004414
	ds_write_b64 v20, v[72:73] offset:15232                    // 000000007698: D89A3B80 00004814
	v_lshrrev_b32_e32 v4, 5, v0                                // 0000000076A0: 20080085
	v_xor_b32_e32 v5, 1, v4                                    // 0000000076A4: 2A0A0881
	s_mul_i32 s60, s65, 1                                      // 0000000076A8: 923C8141
	s_cmp_eq_u32 s88, 0                                        // 0000000076AC: BF068058
	s_cselect_b32 s61, 1, 8                                    // 0000000076B0: 853D8881
	s_mul_i32 s60, s61, s60                                    // 0000000076B4: 923C3C3D
	v_readlane_b32 s82, v3, 0                                  // 0000000076B8: D2890052 00010103
	s_lshr_b32 s61, s82, 24                                    // 0000000076C0: 8F3D9852
	s_and_b32 s82, s82, 0xffffff                               // 0000000076C4: 8652FF52 00FFFFFF
	s_mul_i32 s82, s82, s71                                    // 0000000076CC: 92524752
	s_mul_i32 s61, s60, s61                                    // 0000000076D0: 923D3D3C
	s_add_u32 s82, s82, s61                                    // 0000000076D4: 80523D52
	v_mul_lo_u32 v6, v5, s82                                   // 0000000076D8: D2850006 0000A505
	v_readlane_b32 s82, v3, 1                                  // 0000000076E0: D2890052 00010303
	s_lshr_b32 s61, s82, 24                                    // 0000000076E8: 8F3D9852
	s_and_b32 s82, s82, 0xffffff                               // 0000000076EC: 8652FF52 00FFFFFF
	s_mul_i32 s82, s82, s71                                    // 0000000076F4: 92524752
	s_mul_i32 s61, s60, s61                                    // 0000000076F8: 923D3D3C
	s_add_u32 s82, s82, s61                                    // 0000000076FC: 80523D52
	v_mul_lo_u32 v7, v4, s82                                   // 000000007700: D2850007 0000A504
	v_add_u32_e32 v32, v6, v7                                  // 000000007708: 68400F06
	v_readlane_b32 s82, v3, 2                                  // 00000000770C: D2890052 00010503
	s_lshr_b32 s61, s82, 24                                    // 000000007714: 8F3D9852
	s_and_b32 s82, s82, 0xffffff                               // 000000007718: 8652FF52 00FFFFFF
	s_mul_i32 s82, s82, s71                                    // 000000007720: 92524752
	s_mul_i32 s61, s60, s61                                    // 000000007724: 923D3D3C
	s_add_u32 s82, s82, s61                                    // 000000007728: 80523D52
	v_mul_lo_u32 v6, v5, s82                                   // 00000000772C: D2850006 0000A505
	v_readlane_b32 s82, v3, 3                                  // 000000007734: D2890052 00010703
	s_lshr_b32 s61, s82, 24                                    // 00000000773C: 8F3D9852
	s_and_b32 s82, s82, 0xffffff                               // 000000007740: 8652FF52 00FFFFFF
	s_mul_i32 s82, s82, s71                                    // 000000007748: 92524752
	s_mul_i32 s61, s60, s61                                    // 00000000774C: 923D3D3C
	s_add_u32 s82, s82, s61                                    // 000000007750: 80523D52
	v_mul_lo_u32 v7, v4, s82                                   // 000000007754: D2850007 0000A504
	v_add_u32_e32 v33, v6, v7                                  // 00000000775C: 68420F06
	v_and_b32_e32 v4, 31, v0                                   // 000000007760: 2608009F
	v_lshrrev_b32_e32 v4, 1, v4                                // 000000007764: 20080881
	s_cmp_eq_u32 s88, 0                                        // 000000007768: BF068058
	s_cselect_b32 s61, 2, 4                                    // 00000000776C: 853D8482
	v_mul_lo_u32 v4, v4, s61                                   // 000000007770: D2850004 00007B04
	v_and_b32_e64 v5, v0, 1                                    // 000000007778: D1130005 00010300
	v_add_u32_e32 v4, v4, v5                                   // 000000007780: 68080B04
	v_lshlrev_b32_e32 v4, 2, v4                                // 000000007784: 24080882
	v_add_u32_e32 v32, v32, v4                                 // 000000007788: 68400920
	v_add_u32_e32 v33, v33, v4                                 // 00000000778C: 68420921
	s_waitcnt lgkmcnt(0)                                       // 000000007790: BF8CC07F
	s_barrier                                                  // 000000007794: BF8A0000
	ds_read_b32 v44, v21                                       // 000000007798: D86C0000 2C000015
	ds_read_b32 v45, v21 offset:64                             // 0000000077A0: D86C0040 2D000015
	ds_read_b32 v48, v21 offset:2176                           // 0000000077A8: D86C0880 30000015
	ds_read_b32 v49, v21 offset:2240                           // 0000000077B0: D86C08C0 31000015
	ds_read_b32 v52, v21 offset:4352                           // 0000000077B8: D86C1100 34000015
	ds_read_b32 v53, v21 offset:4416                           // 0000000077C0: D86C1140 35000015
	ds_read_b32 v56, v21 offset:6528                           // 0000000077C8: D86C1980 38000015
	ds_read_b32 v57, v21 offset:6592                           // 0000000077D0: D86C19C0 39000015
	ds_read_b32 v60, v21 offset:8704                           // 0000000077D8: D86C2200 3C000015
	ds_read_b32 v61, v21 offset:8768                           // 0000000077E0: D86C2240 3D000015
	ds_read_b32 v64, v21 offset:10880                          // 0000000077E8: D86C2A80 40000015
	ds_read_b32 v65, v21 offset:10944                          // 0000000077F0: D86C2AC0 41000015
	ds_read_b32 v68, v21 offset:13056                          // 0000000077F8: D86C3300 44000015
	ds_read_b32 v69, v21 offset:13120                          // 000000007800: D86C3340 45000015
	ds_read_b32 v72, v21 offset:15232                          // 000000007808: D86C3B80 48000015
	ds_read_b32 v73, v21 offset:15296                          // 000000007810: D86C3BC0 49000015
	s_waitcnt lgkmcnt(0)                                       // 000000007818: BF8CC07F
	s_mov_b32 s36, -1                                          // 00000000781C: BEA400C1
	s_mov_b32 s37, -1                                          // 000000007820: BEA500C1
	v_mov_b32_e32 v7, 0                                        // 000000007824: 7E0E0280
	s_mov_b64 exec, s[36:37]                                   // 000000007828: BEFE0124
	v_mov_b32_e32 v6, v32                                      // 00000000782C: 7E0C0320
	s_mov_b64 s[60:61], 0                                      // 000000007830: BEBC0180
	v_readlane_b32 s82, v3, 0                                  // 000000007834: D2890052 00010103
	s_and_b32 s82, s82, 0xffffff                               // 00000000783C: 8652FF52 00FFFFFF
	s_cmp_lt_u32 s82, s66                                      // 000000007844: BF0A4252
	s_cselect_b32 s20, s36, s60                                // 000000007848: 85143C24
	v_readlane_b32 s82, v3, 1                                  // 00000000784C: D2890052 00010303
	s_and_b32 s82, s82, 0xffffff                               // 000000007854: 8652FF52 00FFFFFF
	s_cmp_lt_u32 s82, s66                                      // 00000000785C: BF0A4252
	s_cselect_b32 s21, s36, s60                                // 000000007860: 85153C24
	s_mov_b64 exec, s[20:21]                                   // 000000007864: BEFE0114
	global_atomic_add_f32 v6, v44, s[8:9]                      // 000000007868: DD348000 00082C06
	global_atomic_add_f32 v6, v48, s[8:9] offset:256           // 000000007870: DD348100 00083006
	global_atomic_add_f32 v6, v52, s[8:9] offset:512           // 000000007878: DD348200 00083406
	global_atomic_add_f32 v6, v56, s[8:9] offset:768           // 000000007880: DD348300 00083806
	global_atomic_add_f32 v6, v60, s[8:9] offset:1024          // 000000007888: DD348400 00083C06
	global_atomic_add_f32 v6, v64, s[8:9] offset:1280          // 000000007890: DD348500 00084006
	global_atomic_add_f32 v6, v68, s[8:9] offset:1536          // 000000007898: DD348600 00084406
	global_atomic_add_f32 v6, v72, s[8:9] offset:1792          // 0000000078A0: DD348700 00084806
	s_mov_b64 exec, s[36:37]                                   // 0000000078A8: BEFE0124
	v_mov_b32_e32 v6, v33                                      // 0000000078AC: 7E0C0321
	s_mov_b64 s[60:61], 0                                      // 0000000078B0: BEBC0180
	v_readlane_b32 s82, v3, 2                                  // 0000000078B4: D2890052 00010503
	s_and_b32 s82, s82, 0xffffff                               // 0000000078BC: 8652FF52 00FFFFFF
	s_cmp_lt_u32 s82, s66                                      // 0000000078C4: BF0A4252
	s_cselect_b32 s20, s36, s60                                // 0000000078C8: 85143C24
	v_readlane_b32 s82, v3, 3                                  // 0000000078CC: D2890052 00010703
	s_and_b32 s82, s82, 0xffffff                               // 0000000078D4: 8652FF52 00FFFFFF
	s_cmp_lt_u32 s82, s66                                      // 0000000078DC: BF0A4252
	s_cselect_b32 s21, s36, s60                                // 0000000078E0: 85153C24
	s_mov_b64 exec, s[20:21]                                   // 0000000078E4: BEFE0114
	global_atomic_add_f32 v6, v45, s[8:9]                      // 0000000078E8: DD348000 00082D06
	global_atomic_add_f32 v6, v49, s[8:9] offset:256           // 0000000078F0: DD348100 00083106
	global_atomic_add_f32 v6, v53, s[8:9] offset:512           // 0000000078F8: DD348200 00083506
	global_atomic_add_f32 v6, v57, s[8:9] offset:768           // 000000007900: DD348300 00083906
	global_atomic_add_f32 v6, v61, s[8:9] offset:1024          // 000000007908: DD348400 00083D06
	global_atomic_add_f32 v6, v65, s[8:9] offset:1280          // 000000007910: DD348500 00084106
	global_atomic_add_f32 v6, v69, s[8:9] offset:1536          // 000000007918: DD348600 00084506
	global_atomic_add_f32 v6, v73, s[8:9] offset:1792          // 000000007920: DD348700 00084906
	s_mov_b64 exec, s[36:37]                                   // 000000007928: BEFE0124
	ds_write_b64 v20, v[46:47]                                 // 00000000792C: D89A0000 00002E14
	ds_write_b64 v20, v[50:51] offset:2176                     // 000000007934: D89A0880 00003214
	ds_write_b64 v20, v[54:55] offset:4352                     // 00000000793C: D89A1100 00003614
	ds_write_b64 v20, v[58:59] offset:6528                     // 000000007944: D89A1980 00003A14
	ds_write_b64 v20, v[62:63] offset:8704                     // 00000000794C: D89A2200 00003E14
	ds_write_b64 v20, v[66:67] offset:10880                    // 000000007954: D89A2A80 00004214
	ds_write_b64 v20, v[70:71] offset:13056                    // 00000000795C: D89A3300 00004614
	ds_write_b64 v20, v[74:75] offset:15232                    // 000000007964: D89A3B80 00004A14
	s_waitcnt lgkmcnt(0)                                       // 00000000796C: BF8CC07F
	s_barrier                                                  // 000000007970: BF8A0000
	ds_read_b32 v46, v21                                       // 000000007974: D86C0000 2E000015
	ds_read_b32 v47, v21 offset:64                             // 00000000797C: D86C0040 2F000015
	ds_read_b32 v50, v21 offset:2176                           // 000000007984: D86C0880 32000015
	ds_read_b32 v51, v21 offset:2240                           // 00000000798C: D86C08C0 33000015
	ds_read_b32 v54, v21 offset:4352                           // 000000007994: D86C1100 36000015
	ds_read_b32 v55, v21 offset:4416                           // 00000000799C: D86C1140 37000015
	ds_read_b32 v58, v21 offset:6528                           // 0000000079A4: D86C1980 3A000015
	ds_read_b32 v59, v21 offset:6592                           // 0000000079AC: D86C19C0 3B000015
	ds_read_b32 v62, v21 offset:8704                           // 0000000079B4: D86C2200 3E000015
	ds_read_b32 v63, v21 offset:8768                           // 0000000079BC: D86C2240 3F000015
	ds_read_b32 v66, v21 offset:10880                          // 0000000079C4: D86C2A80 42000015
	ds_read_b32 v67, v21 offset:10944                          // 0000000079CC: D86C2AC0 43000015
	ds_read_b32 v70, v21 offset:13056                          // 0000000079D4: D86C3300 46000015
	ds_read_b32 v71, v21 offset:13120                          // 0000000079DC: D86C3340 47000015
	ds_read_b32 v74, v21 offset:15232                          // 0000000079E4: D86C3B80 4A000015
	ds_read_b32 v75, v21 offset:15296                          // 0000000079EC: D86C3BC0 4B000015
	s_waitcnt lgkmcnt(0)                                       // 0000000079F4: BF8CC07F
	v_mov_b32_e32 v7, 0                                        // 0000000079F8: 7E0E0280
	s_mov_b64 exec, s[36:37]                                   // 0000000079FC: BEFE0124
	v_mov_b32_e32 v6, v32                                      // 000000007A00: 7E0C0320
	s_mov_b64 s[60:61], 0                                      // 000000007A04: BEBC0180
	v_readlane_b32 s82, v3, 0                                  // 000000007A08: D2890052 00010103
	s_and_b32 s82, s82, 0xffffff                               // 000000007A10: 8652FF52 00FFFFFF
	s_cmp_lt_u32 s82, s66                                      // 000000007A18: BF0A4252
	s_cselect_b32 s20, s36, s60                                // 000000007A1C: 85143C24
	v_readlane_b32 s82, v3, 1                                  // 000000007A20: D2890052 00010303
	s_and_b32 s82, s82, 0xffffff                               // 000000007A28: 8652FF52 00FFFFFF
	s_cmp_lt_u32 s82, s66                                      // 000000007A30: BF0A4252
	s_cselect_b32 s21, s36, s60                                // 000000007A34: 85153C24
	s_mov_b64 exec, s[20:21]                                   // 000000007A38: BEFE0114
	global_atomic_add_f32 v6, v46, s[8:9] offset:8             // 000000007A3C: DD348008 00082E06
	global_atomic_add_f32 v6, v50, s[8:9] offset:264           // 000000007A44: DD348108 00083206
	global_atomic_add_f32 v6, v54, s[8:9] offset:520           // 000000007A4C: DD348208 00083606
	global_atomic_add_f32 v6, v58, s[8:9] offset:776           // 000000007A54: DD348308 00083A06
	global_atomic_add_f32 v6, v62, s[8:9] offset:1032          // 000000007A5C: DD348408 00083E06
	global_atomic_add_f32 v6, v66, s[8:9] offset:1288          // 000000007A64: DD348508 00084206
	global_atomic_add_f32 v6, v70, s[8:9] offset:1544          // 000000007A6C: DD348608 00084606
	global_atomic_add_f32 v6, v74, s[8:9] offset:1800          // 000000007A74: DD348708 00084A06
	s_mov_b64 exec, s[36:37]                                   // 000000007A7C: BEFE0124
	v_mov_b32_e32 v6, v33                                      // 000000007A80: 7E0C0321
	s_mov_b64 s[60:61], 0                                      // 000000007A84: BEBC0180
	v_readlane_b32 s82, v3, 2                                  // 000000007A88: D2890052 00010503
	s_and_b32 s82, s82, 0xffffff                               // 000000007A90: 8652FF52 00FFFFFF
	s_cmp_lt_u32 s82, s66                                      // 000000007A98: BF0A4252
	s_cselect_b32 s20, s36, s60                                // 000000007A9C: 85143C24
	v_readlane_b32 s82, v3, 3                                  // 000000007AA0: D2890052 00010703
	s_and_b32 s82, s82, 0xffffff                               // 000000007AA8: 8652FF52 00FFFFFF
	s_cmp_lt_u32 s82, s66                                      // 000000007AB0: BF0A4252
	s_cselect_b32 s21, s36, s60                                // 000000007AB4: 85153C24
	s_mov_b64 exec, s[20:21]                                   // 000000007AB8: BEFE0114
	global_atomic_add_f32 v6, v47, s[8:9] offset:8             // 000000007ABC: DD348008 00082F06
	global_atomic_add_f32 v6, v51, s[8:9] offset:264           // 000000007AC4: DD348108 00083306
	global_atomic_add_f32 v6, v55, s[8:9] offset:520           // 000000007ACC: DD348208 00083706
	global_atomic_add_f32 v6, v59, s[8:9] offset:776           // 000000007AD4: DD348308 00083B06
	global_atomic_add_f32 v6, v63, s[8:9] offset:1032          // 000000007ADC: DD348408 00083F06
	global_atomic_add_f32 v6, v67, s[8:9] offset:1288          // 000000007AE4: DD348508 00084306
	global_atomic_add_f32 v6, v71, s[8:9] offset:1544          // 000000007AEC: DD348608 00084706
	global_atomic_add_f32 v6, v75, s[8:9] offset:1800          // 000000007AF4: DD348708 00084B06
	s_mov_b64 exec, s[36:37]                                   // 000000007AFC: BEFE0124
	ds_write_b64 v20, v[76:77]                                 // 000000007B00: D89A0000 00004C14
	ds_write_b64 v20, v[80:81] offset:2176                     // 000000007B08: D89A0880 00005014
	ds_write_b64 v20, v[84:85] offset:4352                     // 000000007B10: D89A1100 00005414
	ds_write_b64 v20, v[88:89] offset:6528                     // 000000007B18: D89A1980 00005814
	ds_write_b64 v20, v[92:93] offset:8704                     // 000000007B20: D89A2200 00005C14
	ds_write_b64 v20, v[96:97] offset:10880                    // 000000007B28: D89A2A80 00006014
	ds_write_b64 v20, v[100:101] offset:13056                  // 000000007B30: D89A3300 00006414
	ds_write_b64 v20, v[104:105] offset:15232                  // 000000007B38: D89A3B80 00006814
	s_waitcnt lgkmcnt(0)                                       // 000000007B40: BF8CC07F
	s_barrier                                                  // 000000007B44: BF8A0000
	ds_read_b32 v76, v21                                       // 000000007B48: D86C0000 4C000015
	ds_read_b32 v77, v21 offset:64                             // 000000007B50: D86C0040 4D000015
	ds_read_b32 v80, v21 offset:2176                           // 000000007B58: D86C0880 50000015
	ds_read_b32 v81, v21 offset:2240                           // 000000007B60: D86C08C0 51000015
	ds_read_b32 v84, v21 offset:4352                           // 000000007B68: D86C1100 54000015
	ds_read_b32 v85, v21 offset:4416                           // 000000007B70: D86C1140 55000015
	ds_read_b32 v88, v21 offset:6528                           // 000000007B78: D86C1980 58000015
	ds_read_b32 v89, v21 offset:6592                           // 000000007B80: D86C19C0 59000015
	ds_read_b32 v92, v21 offset:8704                           // 000000007B88: D86C2200 5C000015
	ds_read_b32 v93, v21 offset:8768                           // 000000007B90: D86C2240 5D000015
	ds_read_b32 v96, v21 offset:10880                          // 000000007B98: D86C2A80 60000015
	ds_read_b32 v97, v21 offset:10944                          // 000000007BA0: D86C2AC0 61000015
	ds_read_b32 v100, v21 offset:13056                         // 000000007BA8: D86C3300 64000015
	ds_read_b32 v101, v21 offset:13120                         // 000000007BB0: D86C3340 65000015
	ds_read_b32 v104, v21 offset:15232                         // 000000007BB8: D86C3B80 68000015
	ds_read_b32 v105, v21 offset:15296                         // 000000007BC0: D86C3BC0 69000015
	s_mul_i32 s60, s65, 4                                      // 000000007BC8: 923C8441
	s_add_u32 s8, s60, s8                                      // 000000007BCC: 8008083C
	s_addc_u32 s9, 0, s9                                       // 000000007BD0: 82090980
	s_waitcnt lgkmcnt(0)                                       // 000000007BD4: BF8CC07F
	v_mov_b32_e32 v7, 0                                        // 000000007BD8: 7E0E0280
	s_mov_b64 exec, s[36:37]                                   // 000000007BDC: BEFE0124
	v_mov_b32_e32 v6, v32                                      // 000000007BE0: 7E0C0320
	s_mov_b64 s[60:61], 0                                      // 000000007BE4: BEBC0180
	v_readlane_b32 s82, v3, 0                                  // 000000007BE8: D2890052 00010103
	s_and_b32 s82, s82, 0xffffff                               // 000000007BF0: 8652FF52 00FFFFFF
	s_cmp_lt_u32 s82, s66                                      // 000000007BF8: BF0A4252
	s_cselect_b32 s20, s36, s60                                // 000000007BFC: 85143C24
	v_readlane_b32 s82, v3, 1                                  // 000000007C00: D2890052 00010303
	s_and_b32 s82, s82, 0xffffff                               // 000000007C08: 8652FF52 00FFFFFF
	s_cmp_lt_u32 s82, s66                                      // 000000007C10: BF0A4252
	s_cselect_b32 s21, s36, s60                                // 000000007C14: 85153C24
	s_mov_b64 exec, s[20:21]                                   // 000000007C18: BEFE0114
	global_atomic_add_f32 v6, v76, s[8:9]                      // 000000007C1C: DD348000 00084C06
	global_atomic_add_f32 v6, v80, s[8:9] offset:256           // 000000007C24: DD348100 00085006
	global_atomic_add_f32 v6, v84, s[8:9] offset:512           // 000000007C2C: DD348200 00085406
	global_atomic_add_f32 v6, v88, s[8:9] offset:768           // 000000007C34: DD348300 00085806
	global_atomic_add_f32 v6, v92, s[8:9] offset:1024          // 000000007C3C: DD348400 00085C06
	global_atomic_add_f32 v6, v96, s[8:9] offset:1280          // 000000007C44: DD348500 00086006
	global_atomic_add_f32 v6, v100, s[8:9] offset:1536         // 000000007C4C: DD348600 00086406
	global_atomic_add_f32 v6, v104, s[8:9] offset:1792         // 000000007C54: DD348700 00086806
	s_mov_b64 exec, s[36:37]                                   // 000000007C5C: BEFE0124
	v_mov_b32_e32 v6, v33                                      // 000000007C60: 7E0C0321
	s_mov_b64 s[60:61], 0                                      // 000000007C64: BEBC0180
	v_readlane_b32 s82, v3, 2                                  // 000000007C68: D2890052 00010503
	s_and_b32 s82, s82, 0xffffff                               // 000000007C70: 8652FF52 00FFFFFF
	s_cmp_lt_u32 s82, s66                                      // 000000007C78: BF0A4252
	s_cselect_b32 s20, s36, s60                                // 000000007C7C: 85143C24
	v_readlane_b32 s82, v3, 3                                  // 000000007C80: D2890052 00010703
	s_and_b32 s82, s82, 0xffffff                               // 000000007C88: 8652FF52 00FFFFFF
	s_cmp_lt_u32 s82, s66                                      // 000000007C90: BF0A4252
	s_cselect_b32 s21, s36, s60                                // 000000007C94: 85153C24
	s_mov_b64 exec, s[20:21]                                   // 000000007C98: BEFE0114
	global_atomic_add_f32 v6, v77, s[8:9]                      // 000000007C9C: DD348000 00084D06
	global_atomic_add_f32 v6, v81, s[8:9] offset:256           // 000000007CA4: DD348100 00085106
	global_atomic_add_f32 v6, v85, s[8:9] offset:512           // 000000007CAC: DD348200 00085506
	global_atomic_add_f32 v6, v89, s[8:9] offset:768           // 000000007CB4: DD348300 00085906
	global_atomic_add_f32 v6, v93, s[8:9] offset:1024          // 000000007CBC: DD348400 00085D06
	global_atomic_add_f32 v6, v97, s[8:9] offset:1280          // 000000007CC4: DD348500 00086106
	global_atomic_add_f32 v6, v101, s[8:9] offset:1536         // 000000007CCC: DD348600 00086506
	global_atomic_add_f32 v6, v105, s[8:9] offset:1792         // 000000007CD4: DD348700 00086906
	s_mov_b64 exec, s[36:37]                                   // 000000007CDC: BEFE0124
	ds_write_b64 v20, v[78:79]                                 // 000000007CE0: D89A0000 00004E14
	ds_write_b64 v20, v[82:83] offset:2176                     // 000000007CE8: D89A0880 00005214
	ds_write_b64 v20, v[86:87] offset:4352                     // 000000007CF0: D89A1100 00005614
	ds_write_b64 v20, v[90:91] offset:6528                     // 000000007CF8: D89A1980 00005A14
	ds_write_b64 v20, v[94:95] offset:8704                     // 000000007D00: D89A2200 00005E14
	ds_write_b64 v20, v[98:99] offset:10880                    // 000000007D08: D89A2A80 00006214
	ds_write_b64 v20, v[102:103] offset:13056                  // 000000007D10: D89A3300 00006614
	ds_write_b64 v20, v[106:107] offset:15232                  // 000000007D18: D89A3B80 00006A14
	s_waitcnt lgkmcnt(0)                                       // 000000007D20: BF8CC07F
	s_barrier                                                  // 000000007D24: BF8A0000
	ds_read_b32 v78, v21                                       // 000000007D28: D86C0000 4E000015
	ds_read_b32 v79, v21 offset:64                             // 000000007D30: D86C0040 4F000015
	ds_read_b32 v82, v21 offset:2176                           // 000000007D38: D86C0880 52000015
	ds_read_b32 v83, v21 offset:2240                           // 000000007D40: D86C08C0 53000015
	ds_read_b32 v86, v21 offset:4352                           // 000000007D48: D86C1100 56000015
	ds_read_b32 v87, v21 offset:4416                           // 000000007D50: D86C1140 57000015
	ds_read_b32 v90, v21 offset:6528                           // 000000007D58: D86C1980 5A000015
	ds_read_b32 v91, v21 offset:6592                           // 000000007D60: D86C19C0 5B000015
	ds_read_b32 v94, v21 offset:8704                           // 000000007D68: D86C2200 5E000015
	ds_read_b32 v95, v21 offset:8768                           // 000000007D70: D86C2240 5F000015
	ds_read_b32 v98, v21 offset:10880                          // 000000007D78: D86C2A80 62000015
	ds_read_b32 v99, v21 offset:10944                          // 000000007D80: D86C2AC0 63000015
	ds_read_b32 v102, v21 offset:13056                         // 000000007D88: D86C3300 66000015
	ds_read_b32 v103, v21 offset:13120                         // 000000007D90: D86C3340 67000015
	ds_read_b32 v106, v21 offset:15232                         // 000000007D98: D86C3B80 6A000015
	ds_read_b32 v107, v21 offset:15296                         // 000000007DA0: D86C3BC0 6B000015
	s_waitcnt lgkmcnt(0)                                       // 000000007DA8: BF8CC07F
	v_mov_b32_e32 v7, 0                                        // 000000007DAC: 7E0E0280
	s_mov_b64 exec, s[36:37]                                   // 000000007DB0: BEFE0124
	v_mov_b32_e32 v6, v32                                      // 000000007DB4: 7E0C0320
	s_mov_b64 s[60:61], 0                                      // 000000007DB8: BEBC0180
	v_readlane_b32 s82, v3, 0                                  // 000000007DBC: D2890052 00010103
	s_and_b32 s82, s82, 0xffffff                               // 000000007DC4: 8652FF52 00FFFFFF
	s_cmp_lt_u32 s82, s66                                      // 000000007DCC: BF0A4252
	s_cselect_b32 s20, s36, s60                                // 000000007DD0: 85143C24
	v_readlane_b32 s82, v3, 1                                  // 000000007DD4: D2890052 00010303
	s_and_b32 s82, s82, 0xffffff                               // 000000007DDC: 8652FF52 00FFFFFF
	s_cmp_lt_u32 s82, s66                                      // 000000007DE4: BF0A4252
	s_cselect_b32 s21, s36, s60                                // 000000007DE8: 85153C24
	s_mov_b64 exec, s[20:21]                                   // 000000007DEC: BEFE0114
	global_atomic_add_f32 v6, v78, s[8:9] offset:8             // 000000007DF0: DD348008 00084E06
	global_atomic_add_f32 v6, v82, s[8:9] offset:264           // 000000007DF8: DD348108 00085206
	global_atomic_add_f32 v6, v86, s[8:9] offset:520           // 000000007E00: DD348208 00085606
	global_atomic_add_f32 v6, v90, s[8:9] offset:776           // 000000007E08: DD348308 00085A06
	global_atomic_add_f32 v6, v94, s[8:9] offset:1032          // 000000007E10: DD348408 00085E06
	global_atomic_add_f32 v6, v98, s[8:9] offset:1288          // 000000007E18: DD348508 00086206
	global_atomic_add_f32 v6, v102, s[8:9] offset:1544         // 000000007E20: DD348608 00086606
	global_atomic_add_f32 v6, v106, s[8:9] offset:1800         // 000000007E28: DD348708 00086A06
	s_mov_b64 exec, s[36:37]                                   // 000000007E30: BEFE0124
	v_mov_b32_e32 v6, v33                                      // 000000007E34: 7E0C0321
	s_mov_b64 s[60:61], 0                                      // 000000007E38: BEBC0180
	v_readlane_b32 s82, v3, 2                                  // 000000007E3C: D2890052 00010503
	s_and_b32 s82, s82, 0xffffff                               // 000000007E44: 8652FF52 00FFFFFF
	s_cmp_lt_u32 s82, s66                                      // 000000007E4C: BF0A4252
	s_cselect_b32 s20, s36, s60                                // 000000007E50: 85143C24
	v_readlane_b32 s82, v3, 3                                  // 000000007E54: D2890052 00010703
	s_and_b32 s82, s82, 0xffffff                               // 000000007E5C: 8652FF52 00FFFFFF
	s_cmp_lt_u32 s82, s66                                      // 000000007E64: BF0A4252
	s_cselect_b32 s21, s36, s60                                // 000000007E68: 85153C24
	s_mov_b64 exec, s[20:21]                                   // 000000007E6C: BEFE0114
	global_atomic_add_f32 v6, v79, s[8:9] offset:8             // 000000007E70: DD348008 00084F06
	global_atomic_add_f32 v6, v83, s[8:9] offset:264           // 000000007E78: DD348108 00085306
	global_atomic_add_f32 v6, v87, s[8:9] offset:520           // 000000007E80: DD348208 00085706
	global_atomic_add_f32 v6, v91, s[8:9] offset:776           // 000000007E88: DD348308 00085B06
	global_atomic_add_f32 v6, v95, s[8:9] offset:1032          // 000000007E90: DD348408 00085F06
	global_atomic_add_f32 v6, v99, s[8:9] offset:1288          // 000000007E98: DD348508 00086306
	global_atomic_add_f32 v6, v103, s[8:9] offset:1544         // 000000007EA0: DD348608 00086706
	global_atomic_add_f32 v6, v107, s[8:9] offset:1800         // 000000007EA8: DD348708 00086B06
	s_mov_b64 exec, s[36:37]                                   // 000000007EB0: BEFE0124
	s_branch label_1531                                        // 000000007EB4: BF820000

0000000000007eb8 <label_1531>:
	s_waitcnt vmcnt(0) expcnt(0) lgkmcnt(0)                    // 000000007EB8: BF8C0000
	s_endpgm                                                   // 000000007EBC: BF810000
